;; amdgpu-corpus repo=ROCm/rocThrust kind=compiled arch=gfx906 opt=O3
	.amdgcn_target "amdgcn-amd-amdhsa--gfx906"
	.amdhsa_code_object_version 6
	.section	.text._ZN6thrust23THRUST_200600_302600_NS11hip_rocprim14__parallel_for6kernelILj256ENS1_20__uninitialized_fill7functorINS0_10device_ptrIfEEfEEmLj1EEEvT0_T1_SA_,"axG",@progbits,_ZN6thrust23THRUST_200600_302600_NS11hip_rocprim14__parallel_for6kernelILj256ENS1_20__uninitialized_fill7functorINS0_10device_ptrIfEEfEEmLj1EEEvT0_T1_SA_,comdat
	.protected	_ZN6thrust23THRUST_200600_302600_NS11hip_rocprim14__parallel_for6kernelILj256ENS1_20__uninitialized_fill7functorINS0_10device_ptrIfEEfEEmLj1EEEvT0_T1_SA_ ; -- Begin function _ZN6thrust23THRUST_200600_302600_NS11hip_rocprim14__parallel_for6kernelILj256ENS1_20__uninitialized_fill7functorINS0_10device_ptrIfEEfEEmLj1EEEvT0_T1_SA_
	.globl	_ZN6thrust23THRUST_200600_302600_NS11hip_rocprim14__parallel_for6kernelILj256ENS1_20__uninitialized_fill7functorINS0_10device_ptrIfEEfEEmLj1EEEvT0_T1_SA_
	.p2align	8
	.type	_ZN6thrust23THRUST_200600_302600_NS11hip_rocprim14__parallel_for6kernelILj256ENS1_20__uninitialized_fill7functorINS0_10device_ptrIfEEfEEmLj1EEEvT0_T1_SA_,@function
_ZN6thrust23THRUST_200600_302600_NS11hip_rocprim14__parallel_for6kernelILj256ENS1_20__uninitialized_fill7functorINS0_10device_ptrIfEEfEEmLj1EEEvT0_T1_SA_: ; @_ZN6thrust23THRUST_200600_302600_NS11hip_rocprim14__parallel_for6kernelILj256ENS1_20__uninitialized_fill7functorINS0_10device_ptrIfEEfEEmLj1EEEvT0_T1_SA_
; %bb.0:
	s_load_dwordx4 s[12:15], s[4:5], 0x10
	s_load_dwordx2 s[0:1], s[4:5], 0x0
	s_load_dword s8, s[4:5], 0x8
	s_lshl_b32 s2, s6, 8
	v_mov_b32_e32 v1, 0xff
	s_waitcnt lgkmcnt(0)
	s_add_u32 s2, s14, s2
	s_addc_u32 s3, s15, 0
	s_sub_u32 s4, s12, s2
	v_mov_b32_e32 v2, 0
	s_subb_u32 s5, s13, s3
	v_cmp_gt_u64_e32 vcc, s[4:5], v[1:2]
	s_mov_b64 s[6:7], -1
	s_cbranch_vccz .LBB0_3
; %bb.1:
	s_andn2_b64 vcc, exec, s[6:7]
	s_cbranch_vccz .LBB0_6
.LBB0_2:
	s_endpgm
.LBB0_3:
	v_cmp_gt_u32_e32 vcc, s4, v0
	s_and_saveexec_b64 s[4:5], vcc
	s_cbranch_execz .LBB0_5
; %bb.4:
	s_lshl_b64 s[6:7], s[2:3], 2
	s_add_u32 s6, s0, s6
	s_addc_u32 s7, s1, s7
	v_lshlrev_b32_e32 v1, 2, v0
	v_mov_b32_e32 v2, s7
	v_add_co_u32_e32 v1, vcc, s6, v1
	v_addc_co_u32_e32 v2, vcc, 0, v2, vcc
	v_mov_b32_e32 v3, s8
	flat_store_dword v[1:2], v3
.LBB0_5:
	s_or_b64 exec, exec, s[4:5]
	s_cbranch_execnz .LBB0_2
.LBB0_6:
	s_lshl_b64 s[2:3], s[2:3], 2
	s_add_u32 s0, s0, s2
	s_addc_u32 s1, s1, s3
	v_lshlrev_b32_e32 v0, 2, v0
	v_mov_b32_e32 v1, s1
	v_add_co_u32_e32 v0, vcc, s0, v0
	v_addc_co_u32_e32 v1, vcc, 0, v1, vcc
	v_mov_b32_e32 v2, s8
	flat_store_dword v[0:1], v2
	s_endpgm
	.section	.rodata,"a",@progbits
	.p2align	6, 0x0
	.amdhsa_kernel _ZN6thrust23THRUST_200600_302600_NS11hip_rocprim14__parallel_for6kernelILj256ENS1_20__uninitialized_fill7functorINS0_10device_ptrIfEEfEEmLj1EEEvT0_T1_SA_
		.amdhsa_group_segment_fixed_size 0
		.amdhsa_private_segment_fixed_size 0
		.amdhsa_kernarg_size 32
		.amdhsa_user_sgpr_count 6
		.amdhsa_user_sgpr_private_segment_buffer 1
		.amdhsa_user_sgpr_dispatch_ptr 0
		.amdhsa_user_sgpr_queue_ptr 0
		.amdhsa_user_sgpr_kernarg_segment_ptr 1
		.amdhsa_user_sgpr_dispatch_id 0
		.amdhsa_user_sgpr_flat_scratch_init 0
		.amdhsa_user_sgpr_private_segment_size 0
		.amdhsa_uses_dynamic_stack 0
		.amdhsa_system_sgpr_private_segment_wavefront_offset 0
		.amdhsa_system_sgpr_workgroup_id_x 1
		.amdhsa_system_sgpr_workgroup_id_y 0
		.amdhsa_system_sgpr_workgroup_id_z 0
		.amdhsa_system_sgpr_workgroup_info 0
		.amdhsa_system_vgpr_workitem_id 0
		.amdhsa_next_free_vgpr 4
		.amdhsa_next_free_sgpr 16
		.amdhsa_reserve_vcc 1
		.amdhsa_reserve_flat_scratch 0
		.amdhsa_float_round_mode_32 0
		.amdhsa_float_round_mode_16_64 0
		.amdhsa_float_denorm_mode_32 3
		.amdhsa_float_denorm_mode_16_64 3
		.amdhsa_dx10_clamp 1
		.amdhsa_ieee_mode 1
		.amdhsa_fp16_overflow 0
		.amdhsa_exception_fp_ieee_invalid_op 0
		.amdhsa_exception_fp_denorm_src 0
		.amdhsa_exception_fp_ieee_div_zero 0
		.amdhsa_exception_fp_ieee_overflow 0
		.amdhsa_exception_fp_ieee_underflow 0
		.amdhsa_exception_fp_ieee_inexact 0
		.amdhsa_exception_int_div_zero 0
	.end_amdhsa_kernel
	.section	.text._ZN6thrust23THRUST_200600_302600_NS11hip_rocprim14__parallel_for6kernelILj256ENS1_20__uninitialized_fill7functorINS0_10device_ptrIfEEfEEmLj1EEEvT0_T1_SA_,"axG",@progbits,_ZN6thrust23THRUST_200600_302600_NS11hip_rocprim14__parallel_for6kernelILj256ENS1_20__uninitialized_fill7functorINS0_10device_ptrIfEEfEEmLj1EEEvT0_T1_SA_,comdat
.Lfunc_end0:
	.size	_ZN6thrust23THRUST_200600_302600_NS11hip_rocprim14__parallel_for6kernelILj256ENS1_20__uninitialized_fill7functorINS0_10device_ptrIfEEfEEmLj1EEEvT0_T1_SA_, .Lfunc_end0-_ZN6thrust23THRUST_200600_302600_NS11hip_rocprim14__parallel_for6kernelILj256ENS1_20__uninitialized_fill7functorINS0_10device_ptrIfEEfEEmLj1EEEvT0_T1_SA_
                                        ; -- End function
	.set _ZN6thrust23THRUST_200600_302600_NS11hip_rocprim14__parallel_for6kernelILj256ENS1_20__uninitialized_fill7functorINS0_10device_ptrIfEEfEEmLj1EEEvT0_T1_SA_.num_vgpr, 4
	.set _ZN6thrust23THRUST_200600_302600_NS11hip_rocprim14__parallel_for6kernelILj256ENS1_20__uninitialized_fill7functorINS0_10device_ptrIfEEfEEmLj1EEEvT0_T1_SA_.num_agpr, 0
	.set _ZN6thrust23THRUST_200600_302600_NS11hip_rocprim14__parallel_for6kernelILj256ENS1_20__uninitialized_fill7functorINS0_10device_ptrIfEEfEEmLj1EEEvT0_T1_SA_.numbered_sgpr, 16
	.set _ZN6thrust23THRUST_200600_302600_NS11hip_rocprim14__parallel_for6kernelILj256ENS1_20__uninitialized_fill7functorINS0_10device_ptrIfEEfEEmLj1EEEvT0_T1_SA_.num_named_barrier, 0
	.set _ZN6thrust23THRUST_200600_302600_NS11hip_rocprim14__parallel_for6kernelILj256ENS1_20__uninitialized_fill7functorINS0_10device_ptrIfEEfEEmLj1EEEvT0_T1_SA_.private_seg_size, 0
	.set _ZN6thrust23THRUST_200600_302600_NS11hip_rocprim14__parallel_for6kernelILj256ENS1_20__uninitialized_fill7functorINS0_10device_ptrIfEEfEEmLj1EEEvT0_T1_SA_.uses_vcc, 1
	.set _ZN6thrust23THRUST_200600_302600_NS11hip_rocprim14__parallel_for6kernelILj256ENS1_20__uninitialized_fill7functorINS0_10device_ptrIfEEfEEmLj1EEEvT0_T1_SA_.uses_flat_scratch, 0
	.set _ZN6thrust23THRUST_200600_302600_NS11hip_rocprim14__parallel_for6kernelILj256ENS1_20__uninitialized_fill7functorINS0_10device_ptrIfEEfEEmLj1EEEvT0_T1_SA_.has_dyn_sized_stack, 0
	.set _ZN6thrust23THRUST_200600_302600_NS11hip_rocprim14__parallel_for6kernelILj256ENS1_20__uninitialized_fill7functorINS0_10device_ptrIfEEfEEmLj1EEEvT0_T1_SA_.has_recursion, 0
	.set _ZN6thrust23THRUST_200600_302600_NS11hip_rocprim14__parallel_for6kernelILj256ENS1_20__uninitialized_fill7functorINS0_10device_ptrIfEEfEEmLj1EEEvT0_T1_SA_.has_indirect_call, 0
	.section	.AMDGPU.csdata,"",@progbits
; Kernel info:
; codeLenInByte = 188
; TotalNumSgprs: 20
; NumVgprs: 4
; ScratchSize: 0
; MemoryBound: 0
; FloatMode: 240
; IeeeMode: 1
; LDSByteSize: 0 bytes/workgroup (compile time only)
; SGPRBlocks: 2
; VGPRBlocks: 0
; NumSGPRsForWavesPerEU: 20
; NumVGPRsForWavesPerEU: 4
; Occupancy: 10
; WaveLimiterHint : 0
; COMPUTE_PGM_RSRC2:SCRATCH_EN: 0
; COMPUTE_PGM_RSRC2:USER_SGPR: 6
; COMPUTE_PGM_RSRC2:TRAP_HANDLER: 0
; COMPUTE_PGM_RSRC2:TGID_X_EN: 1
; COMPUTE_PGM_RSRC2:TGID_Y_EN: 0
; COMPUTE_PGM_RSRC2:TGID_Z_EN: 0
; COMPUTE_PGM_RSRC2:TIDIG_COMP_CNT: 0
	.section	.text._ZN7rocprim17ROCPRIM_400000_NS6detail17trampoline_kernelINS0_14default_configENS1_22reduce_config_selectorIN6thrust23THRUST_200600_302600_NS5tupleIbffNS6_9null_typeES8_S8_S8_S8_S8_S8_EEEEZNS1_11reduce_implILb1ES3_PS9_SC_S9_12reduce_tupleIifEEE10hipError_tPvRmT1_T2_T3_mT4_P12ihipStream_tbEUlT_E0_NS1_11comp_targetILNS1_3genE0ELNS1_11target_archE4294967295ELNS1_3gpuE0ELNS1_3repE0EEENS1_30default_config_static_selectorELNS0_4arch9wavefront6targetE1EEEvSI_,"axG",@progbits,_ZN7rocprim17ROCPRIM_400000_NS6detail17trampoline_kernelINS0_14default_configENS1_22reduce_config_selectorIN6thrust23THRUST_200600_302600_NS5tupleIbffNS6_9null_typeES8_S8_S8_S8_S8_S8_EEEEZNS1_11reduce_implILb1ES3_PS9_SC_S9_12reduce_tupleIifEEE10hipError_tPvRmT1_T2_T3_mT4_P12ihipStream_tbEUlT_E0_NS1_11comp_targetILNS1_3genE0ELNS1_11target_archE4294967295ELNS1_3gpuE0ELNS1_3repE0EEENS1_30default_config_static_selectorELNS0_4arch9wavefront6targetE1EEEvSI_,comdat
	.protected	_ZN7rocprim17ROCPRIM_400000_NS6detail17trampoline_kernelINS0_14default_configENS1_22reduce_config_selectorIN6thrust23THRUST_200600_302600_NS5tupleIbffNS6_9null_typeES8_S8_S8_S8_S8_S8_EEEEZNS1_11reduce_implILb1ES3_PS9_SC_S9_12reduce_tupleIifEEE10hipError_tPvRmT1_T2_T3_mT4_P12ihipStream_tbEUlT_E0_NS1_11comp_targetILNS1_3genE0ELNS1_11target_archE4294967295ELNS1_3gpuE0ELNS1_3repE0EEENS1_30default_config_static_selectorELNS0_4arch9wavefront6targetE1EEEvSI_ ; -- Begin function _ZN7rocprim17ROCPRIM_400000_NS6detail17trampoline_kernelINS0_14default_configENS1_22reduce_config_selectorIN6thrust23THRUST_200600_302600_NS5tupleIbffNS6_9null_typeES8_S8_S8_S8_S8_S8_EEEEZNS1_11reduce_implILb1ES3_PS9_SC_S9_12reduce_tupleIifEEE10hipError_tPvRmT1_T2_T3_mT4_P12ihipStream_tbEUlT_E0_NS1_11comp_targetILNS1_3genE0ELNS1_11target_archE4294967295ELNS1_3gpuE0ELNS1_3repE0EEENS1_30default_config_static_selectorELNS0_4arch9wavefront6targetE1EEEvSI_
	.globl	_ZN7rocprim17ROCPRIM_400000_NS6detail17trampoline_kernelINS0_14default_configENS1_22reduce_config_selectorIN6thrust23THRUST_200600_302600_NS5tupleIbffNS6_9null_typeES8_S8_S8_S8_S8_S8_EEEEZNS1_11reduce_implILb1ES3_PS9_SC_S9_12reduce_tupleIifEEE10hipError_tPvRmT1_T2_T3_mT4_P12ihipStream_tbEUlT_E0_NS1_11comp_targetILNS1_3genE0ELNS1_11target_archE4294967295ELNS1_3gpuE0ELNS1_3repE0EEENS1_30default_config_static_selectorELNS0_4arch9wavefront6targetE1EEEvSI_
	.p2align	8
	.type	_ZN7rocprim17ROCPRIM_400000_NS6detail17trampoline_kernelINS0_14default_configENS1_22reduce_config_selectorIN6thrust23THRUST_200600_302600_NS5tupleIbffNS6_9null_typeES8_S8_S8_S8_S8_S8_EEEEZNS1_11reduce_implILb1ES3_PS9_SC_S9_12reduce_tupleIifEEE10hipError_tPvRmT1_T2_T3_mT4_P12ihipStream_tbEUlT_E0_NS1_11comp_targetILNS1_3genE0ELNS1_11target_archE4294967295ELNS1_3gpuE0ELNS1_3repE0EEENS1_30default_config_static_selectorELNS0_4arch9wavefront6targetE1EEEvSI_,@function
_ZN7rocprim17ROCPRIM_400000_NS6detail17trampoline_kernelINS0_14default_configENS1_22reduce_config_selectorIN6thrust23THRUST_200600_302600_NS5tupleIbffNS6_9null_typeES8_S8_S8_S8_S8_S8_EEEEZNS1_11reduce_implILb1ES3_PS9_SC_S9_12reduce_tupleIifEEE10hipError_tPvRmT1_T2_T3_mT4_P12ihipStream_tbEUlT_E0_NS1_11comp_targetILNS1_3genE0ELNS1_11target_archE4294967295ELNS1_3gpuE0ELNS1_3repE0EEENS1_30default_config_static_selectorELNS0_4arch9wavefront6targetE1EEEvSI_: ; @_ZN7rocprim17ROCPRIM_400000_NS6detail17trampoline_kernelINS0_14default_configENS1_22reduce_config_selectorIN6thrust23THRUST_200600_302600_NS5tupleIbffNS6_9null_typeES8_S8_S8_S8_S8_S8_EEEEZNS1_11reduce_implILb1ES3_PS9_SC_S9_12reduce_tupleIifEEE10hipError_tPvRmT1_T2_T3_mT4_P12ihipStream_tbEUlT_E0_NS1_11comp_targetILNS1_3genE0ELNS1_11target_archE4294967295ELNS1_3gpuE0ELNS1_3repE0EEENS1_30default_config_static_selectorELNS0_4arch9wavefront6targetE1EEEvSI_
; %bb.0:
	.section	.rodata,"a",@progbits
	.p2align	6, 0x0
	.amdhsa_kernel _ZN7rocprim17ROCPRIM_400000_NS6detail17trampoline_kernelINS0_14default_configENS1_22reduce_config_selectorIN6thrust23THRUST_200600_302600_NS5tupleIbffNS6_9null_typeES8_S8_S8_S8_S8_S8_EEEEZNS1_11reduce_implILb1ES3_PS9_SC_S9_12reduce_tupleIifEEE10hipError_tPvRmT1_T2_T3_mT4_P12ihipStream_tbEUlT_E0_NS1_11comp_targetILNS1_3genE0ELNS1_11target_archE4294967295ELNS1_3gpuE0ELNS1_3repE0EEENS1_30default_config_static_selectorELNS0_4arch9wavefront6targetE1EEEvSI_
		.amdhsa_group_segment_fixed_size 0
		.amdhsa_private_segment_fixed_size 0
		.amdhsa_kernarg_size 64
		.amdhsa_user_sgpr_count 6
		.amdhsa_user_sgpr_private_segment_buffer 1
		.amdhsa_user_sgpr_dispatch_ptr 0
		.amdhsa_user_sgpr_queue_ptr 0
		.amdhsa_user_sgpr_kernarg_segment_ptr 1
		.amdhsa_user_sgpr_dispatch_id 0
		.amdhsa_user_sgpr_flat_scratch_init 0
		.amdhsa_user_sgpr_private_segment_size 0
		.amdhsa_uses_dynamic_stack 0
		.amdhsa_system_sgpr_private_segment_wavefront_offset 0
		.amdhsa_system_sgpr_workgroup_id_x 1
		.amdhsa_system_sgpr_workgroup_id_y 0
		.amdhsa_system_sgpr_workgroup_id_z 0
		.amdhsa_system_sgpr_workgroup_info 0
		.amdhsa_system_vgpr_workitem_id 0
		.amdhsa_next_free_vgpr 1
		.amdhsa_next_free_sgpr 0
		.amdhsa_reserve_vcc 0
		.amdhsa_reserve_flat_scratch 0
		.amdhsa_float_round_mode_32 0
		.amdhsa_float_round_mode_16_64 0
		.amdhsa_float_denorm_mode_32 3
		.amdhsa_float_denorm_mode_16_64 3
		.amdhsa_dx10_clamp 1
		.amdhsa_ieee_mode 1
		.amdhsa_fp16_overflow 0
		.amdhsa_exception_fp_ieee_invalid_op 0
		.amdhsa_exception_fp_denorm_src 0
		.amdhsa_exception_fp_ieee_div_zero 0
		.amdhsa_exception_fp_ieee_overflow 0
		.amdhsa_exception_fp_ieee_underflow 0
		.amdhsa_exception_fp_ieee_inexact 0
		.amdhsa_exception_int_div_zero 0
	.end_amdhsa_kernel
	.section	.text._ZN7rocprim17ROCPRIM_400000_NS6detail17trampoline_kernelINS0_14default_configENS1_22reduce_config_selectorIN6thrust23THRUST_200600_302600_NS5tupleIbffNS6_9null_typeES8_S8_S8_S8_S8_S8_EEEEZNS1_11reduce_implILb1ES3_PS9_SC_S9_12reduce_tupleIifEEE10hipError_tPvRmT1_T2_T3_mT4_P12ihipStream_tbEUlT_E0_NS1_11comp_targetILNS1_3genE0ELNS1_11target_archE4294967295ELNS1_3gpuE0ELNS1_3repE0EEENS1_30default_config_static_selectorELNS0_4arch9wavefront6targetE1EEEvSI_,"axG",@progbits,_ZN7rocprim17ROCPRIM_400000_NS6detail17trampoline_kernelINS0_14default_configENS1_22reduce_config_selectorIN6thrust23THRUST_200600_302600_NS5tupleIbffNS6_9null_typeES8_S8_S8_S8_S8_S8_EEEEZNS1_11reduce_implILb1ES3_PS9_SC_S9_12reduce_tupleIifEEE10hipError_tPvRmT1_T2_T3_mT4_P12ihipStream_tbEUlT_E0_NS1_11comp_targetILNS1_3genE0ELNS1_11target_archE4294967295ELNS1_3gpuE0ELNS1_3repE0EEENS1_30default_config_static_selectorELNS0_4arch9wavefront6targetE1EEEvSI_,comdat
.Lfunc_end1:
	.size	_ZN7rocprim17ROCPRIM_400000_NS6detail17trampoline_kernelINS0_14default_configENS1_22reduce_config_selectorIN6thrust23THRUST_200600_302600_NS5tupleIbffNS6_9null_typeES8_S8_S8_S8_S8_S8_EEEEZNS1_11reduce_implILb1ES3_PS9_SC_S9_12reduce_tupleIifEEE10hipError_tPvRmT1_T2_T3_mT4_P12ihipStream_tbEUlT_E0_NS1_11comp_targetILNS1_3genE0ELNS1_11target_archE4294967295ELNS1_3gpuE0ELNS1_3repE0EEENS1_30default_config_static_selectorELNS0_4arch9wavefront6targetE1EEEvSI_, .Lfunc_end1-_ZN7rocprim17ROCPRIM_400000_NS6detail17trampoline_kernelINS0_14default_configENS1_22reduce_config_selectorIN6thrust23THRUST_200600_302600_NS5tupleIbffNS6_9null_typeES8_S8_S8_S8_S8_S8_EEEEZNS1_11reduce_implILb1ES3_PS9_SC_S9_12reduce_tupleIifEEE10hipError_tPvRmT1_T2_T3_mT4_P12ihipStream_tbEUlT_E0_NS1_11comp_targetILNS1_3genE0ELNS1_11target_archE4294967295ELNS1_3gpuE0ELNS1_3repE0EEENS1_30default_config_static_selectorELNS0_4arch9wavefront6targetE1EEEvSI_
                                        ; -- End function
	.set _ZN7rocprim17ROCPRIM_400000_NS6detail17trampoline_kernelINS0_14default_configENS1_22reduce_config_selectorIN6thrust23THRUST_200600_302600_NS5tupleIbffNS6_9null_typeES8_S8_S8_S8_S8_S8_EEEEZNS1_11reduce_implILb1ES3_PS9_SC_S9_12reduce_tupleIifEEE10hipError_tPvRmT1_T2_T3_mT4_P12ihipStream_tbEUlT_E0_NS1_11comp_targetILNS1_3genE0ELNS1_11target_archE4294967295ELNS1_3gpuE0ELNS1_3repE0EEENS1_30default_config_static_selectorELNS0_4arch9wavefront6targetE1EEEvSI_.num_vgpr, 0
	.set _ZN7rocprim17ROCPRIM_400000_NS6detail17trampoline_kernelINS0_14default_configENS1_22reduce_config_selectorIN6thrust23THRUST_200600_302600_NS5tupleIbffNS6_9null_typeES8_S8_S8_S8_S8_S8_EEEEZNS1_11reduce_implILb1ES3_PS9_SC_S9_12reduce_tupleIifEEE10hipError_tPvRmT1_T2_T3_mT4_P12ihipStream_tbEUlT_E0_NS1_11comp_targetILNS1_3genE0ELNS1_11target_archE4294967295ELNS1_3gpuE0ELNS1_3repE0EEENS1_30default_config_static_selectorELNS0_4arch9wavefront6targetE1EEEvSI_.num_agpr, 0
	.set _ZN7rocprim17ROCPRIM_400000_NS6detail17trampoline_kernelINS0_14default_configENS1_22reduce_config_selectorIN6thrust23THRUST_200600_302600_NS5tupleIbffNS6_9null_typeES8_S8_S8_S8_S8_S8_EEEEZNS1_11reduce_implILb1ES3_PS9_SC_S9_12reduce_tupleIifEEE10hipError_tPvRmT1_T2_T3_mT4_P12ihipStream_tbEUlT_E0_NS1_11comp_targetILNS1_3genE0ELNS1_11target_archE4294967295ELNS1_3gpuE0ELNS1_3repE0EEENS1_30default_config_static_selectorELNS0_4arch9wavefront6targetE1EEEvSI_.numbered_sgpr, 0
	.set _ZN7rocprim17ROCPRIM_400000_NS6detail17trampoline_kernelINS0_14default_configENS1_22reduce_config_selectorIN6thrust23THRUST_200600_302600_NS5tupleIbffNS6_9null_typeES8_S8_S8_S8_S8_S8_EEEEZNS1_11reduce_implILb1ES3_PS9_SC_S9_12reduce_tupleIifEEE10hipError_tPvRmT1_T2_T3_mT4_P12ihipStream_tbEUlT_E0_NS1_11comp_targetILNS1_3genE0ELNS1_11target_archE4294967295ELNS1_3gpuE0ELNS1_3repE0EEENS1_30default_config_static_selectorELNS0_4arch9wavefront6targetE1EEEvSI_.num_named_barrier, 0
	.set _ZN7rocprim17ROCPRIM_400000_NS6detail17trampoline_kernelINS0_14default_configENS1_22reduce_config_selectorIN6thrust23THRUST_200600_302600_NS5tupleIbffNS6_9null_typeES8_S8_S8_S8_S8_S8_EEEEZNS1_11reduce_implILb1ES3_PS9_SC_S9_12reduce_tupleIifEEE10hipError_tPvRmT1_T2_T3_mT4_P12ihipStream_tbEUlT_E0_NS1_11comp_targetILNS1_3genE0ELNS1_11target_archE4294967295ELNS1_3gpuE0ELNS1_3repE0EEENS1_30default_config_static_selectorELNS0_4arch9wavefront6targetE1EEEvSI_.private_seg_size, 0
	.set _ZN7rocprim17ROCPRIM_400000_NS6detail17trampoline_kernelINS0_14default_configENS1_22reduce_config_selectorIN6thrust23THRUST_200600_302600_NS5tupleIbffNS6_9null_typeES8_S8_S8_S8_S8_S8_EEEEZNS1_11reduce_implILb1ES3_PS9_SC_S9_12reduce_tupleIifEEE10hipError_tPvRmT1_T2_T3_mT4_P12ihipStream_tbEUlT_E0_NS1_11comp_targetILNS1_3genE0ELNS1_11target_archE4294967295ELNS1_3gpuE0ELNS1_3repE0EEENS1_30default_config_static_selectorELNS0_4arch9wavefront6targetE1EEEvSI_.uses_vcc, 0
	.set _ZN7rocprim17ROCPRIM_400000_NS6detail17trampoline_kernelINS0_14default_configENS1_22reduce_config_selectorIN6thrust23THRUST_200600_302600_NS5tupleIbffNS6_9null_typeES8_S8_S8_S8_S8_S8_EEEEZNS1_11reduce_implILb1ES3_PS9_SC_S9_12reduce_tupleIifEEE10hipError_tPvRmT1_T2_T3_mT4_P12ihipStream_tbEUlT_E0_NS1_11comp_targetILNS1_3genE0ELNS1_11target_archE4294967295ELNS1_3gpuE0ELNS1_3repE0EEENS1_30default_config_static_selectorELNS0_4arch9wavefront6targetE1EEEvSI_.uses_flat_scratch, 0
	.set _ZN7rocprim17ROCPRIM_400000_NS6detail17trampoline_kernelINS0_14default_configENS1_22reduce_config_selectorIN6thrust23THRUST_200600_302600_NS5tupleIbffNS6_9null_typeES8_S8_S8_S8_S8_S8_EEEEZNS1_11reduce_implILb1ES3_PS9_SC_S9_12reduce_tupleIifEEE10hipError_tPvRmT1_T2_T3_mT4_P12ihipStream_tbEUlT_E0_NS1_11comp_targetILNS1_3genE0ELNS1_11target_archE4294967295ELNS1_3gpuE0ELNS1_3repE0EEENS1_30default_config_static_selectorELNS0_4arch9wavefront6targetE1EEEvSI_.has_dyn_sized_stack, 0
	.set _ZN7rocprim17ROCPRIM_400000_NS6detail17trampoline_kernelINS0_14default_configENS1_22reduce_config_selectorIN6thrust23THRUST_200600_302600_NS5tupleIbffNS6_9null_typeES8_S8_S8_S8_S8_S8_EEEEZNS1_11reduce_implILb1ES3_PS9_SC_S9_12reduce_tupleIifEEE10hipError_tPvRmT1_T2_T3_mT4_P12ihipStream_tbEUlT_E0_NS1_11comp_targetILNS1_3genE0ELNS1_11target_archE4294967295ELNS1_3gpuE0ELNS1_3repE0EEENS1_30default_config_static_selectorELNS0_4arch9wavefront6targetE1EEEvSI_.has_recursion, 0
	.set _ZN7rocprim17ROCPRIM_400000_NS6detail17trampoline_kernelINS0_14default_configENS1_22reduce_config_selectorIN6thrust23THRUST_200600_302600_NS5tupleIbffNS6_9null_typeES8_S8_S8_S8_S8_S8_EEEEZNS1_11reduce_implILb1ES3_PS9_SC_S9_12reduce_tupleIifEEE10hipError_tPvRmT1_T2_T3_mT4_P12ihipStream_tbEUlT_E0_NS1_11comp_targetILNS1_3genE0ELNS1_11target_archE4294967295ELNS1_3gpuE0ELNS1_3repE0EEENS1_30default_config_static_selectorELNS0_4arch9wavefront6targetE1EEEvSI_.has_indirect_call, 0
	.section	.AMDGPU.csdata,"",@progbits
; Kernel info:
; codeLenInByte = 0
; TotalNumSgprs: 4
; NumVgprs: 0
; ScratchSize: 0
; MemoryBound: 0
; FloatMode: 240
; IeeeMode: 1
; LDSByteSize: 0 bytes/workgroup (compile time only)
; SGPRBlocks: 0
; VGPRBlocks: 0
; NumSGPRsForWavesPerEU: 4
; NumVGPRsForWavesPerEU: 1
; Occupancy: 10
; WaveLimiterHint : 0
; COMPUTE_PGM_RSRC2:SCRATCH_EN: 0
; COMPUTE_PGM_RSRC2:USER_SGPR: 6
; COMPUTE_PGM_RSRC2:TRAP_HANDLER: 0
; COMPUTE_PGM_RSRC2:TGID_X_EN: 1
; COMPUTE_PGM_RSRC2:TGID_Y_EN: 0
; COMPUTE_PGM_RSRC2:TGID_Z_EN: 0
; COMPUTE_PGM_RSRC2:TIDIG_COMP_CNT: 0
	.section	.text._ZN7rocprim17ROCPRIM_400000_NS6detail17trampoline_kernelINS0_14default_configENS1_22reduce_config_selectorIN6thrust23THRUST_200600_302600_NS5tupleIbffNS6_9null_typeES8_S8_S8_S8_S8_S8_EEEEZNS1_11reduce_implILb1ES3_PS9_SC_S9_12reduce_tupleIifEEE10hipError_tPvRmT1_T2_T3_mT4_P12ihipStream_tbEUlT_E0_NS1_11comp_targetILNS1_3genE5ELNS1_11target_archE942ELNS1_3gpuE9ELNS1_3repE0EEENS1_30default_config_static_selectorELNS0_4arch9wavefront6targetE1EEEvSI_,"axG",@progbits,_ZN7rocprim17ROCPRIM_400000_NS6detail17trampoline_kernelINS0_14default_configENS1_22reduce_config_selectorIN6thrust23THRUST_200600_302600_NS5tupleIbffNS6_9null_typeES8_S8_S8_S8_S8_S8_EEEEZNS1_11reduce_implILb1ES3_PS9_SC_S9_12reduce_tupleIifEEE10hipError_tPvRmT1_T2_T3_mT4_P12ihipStream_tbEUlT_E0_NS1_11comp_targetILNS1_3genE5ELNS1_11target_archE942ELNS1_3gpuE9ELNS1_3repE0EEENS1_30default_config_static_selectorELNS0_4arch9wavefront6targetE1EEEvSI_,comdat
	.protected	_ZN7rocprim17ROCPRIM_400000_NS6detail17trampoline_kernelINS0_14default_configENS1_22reduce_config_selectorIN6thrust23THRUST_200600_302600_NS5tupleIbffNS6_9null_typeES8_S8_S8_S8_S8_S8_EEEEZNS1_11reduce_implILb1ES3_PS9_SC_S9_12reduce_tupleIifEEE10hipError_tPvRmT1_T2_T3_mT4_P12ihipStream_tbEUlT_E0_NS1_11comp_targetILNS1_3genE5ELNS1_11target_archE942ELNS1_3gpuE9ELNS1_3repE0EEENS1_30default_config_static_selectorELNS0_4arch9wavefront6targetE1EEEvSI_ ; -- Begin function _ZN7rocprim17ROCPRIM_400000_NS6detail17trampoline_kernelINS0_14default_configENS1_22reduce_config_selectorIN6thrust23THRUST_200600_302600_NS5tupleIbffNS6_9null_typeES8_S8_S8_S8_S8_S8_EEEEZNS1_11reduce_implILb1ES3_PS9_SC_S9_12reduce_tupleIifEEE10hipError_tPvRmT1_T2_T3_mT4_P12ihipStream_tbEUlT_E0_NS1_11comp_targetILNS1_3genE5ELNS1_11target_archE942ELNS1_3gpuE9ELNS1_3repE0EEENS1_30default_config_static_selectorELNS0_4arch9wavefront6targetE1EEEvSI_
	.globl	_ZN7rocprim17ROCPRIM_400000_NS6detail17trampoline_kernelINS0_14default_configENS1_22reduce_config_selectorIN6thrust23THRUST_200600_302600_NS5tupleIbffNS6_9null_typeES8_S8_S8_S8_S8_S8_EEEEZNS1_11reduce_implILb1ES3_PS9_SC_S9_12reduce_tupleIifEEE10hipError_tPvRmT1_T2_T3_mT4_P12ihipStream_tbEUlT_E0_NS1_11comp_targetILNS1_3genE5ELNS1_11target_archE942ELNS1_3gpuE9ELNS1_3repE0EEENS1_30default_config_static_selectorELNS0_4arch9wavefront6targetE1EEEvSI_
	.p2align	8
	.type	_ZN7rocprim17ROCPRIM_400000_NS6detail17trampoline_kernelINS0_14default_configENS1_22reduce_config_selectorIN6thrust23THRUST_200600_302600_NS5tupleIbffNS6_9null_typeES8_S8_S8_S8_S8_S8_EEEEZNS1_11reduce_implILb1ES3_PS9_SC_S9_12reduce_tupleIifEEE10hipError_tPvRmT1_T2_T3_mT4_P12ihipStream_tbEUlT_E0_NS1_11comp_targetILNS1_3genE5ELNS1_11target_archE942ELNS1_3gpuE9ELNS1_3repE0EEENS1_30default_config_static_selectorELNS0_4arch9wavefront6targetE1EEEvSI_,@function
_ZN7rocprim17ROCPRIM_400000_NS6detail17trampoline_kernelINS0_14default_configENS1_22reduce_config_selectorIN6thrust23THRUST_200600_302600_NS5tupleIbffNS6_9null_typeES8_S8_S8_S8_S8_S8_EEEEZNS1_11reduce_implILb1ES3_PS9_SC_S9_12reduce_tupleIifEEE10hipError_tPvRmT1_T2_T3_mT4_P12ihipStream_tbEUlT_E0_NS1_11comp_targetILNS1_3genE5ELNS1_11target_archE942ELNS1_3gpuE9ELNS1_3repE0EEENS1_30default_config_static_selectorELNS0_4arch9wavefront6targetE1EEEvSI_: ; @_ZN7rocprim17ROCPRIM_400000_NS6detail17trampoline_kernelINS0_14default_configENS1_22reduce_config_selectorIN6thrust23THRUST_200600_302600_NS5tupleIbffNS6_9null_typeES8_S8_S8_S8_S8_S8_EEEEZNS1_11reduce_implILb1ES3_PS9_SC_S9_12reduce_tupleIifEEE10hipError_tPvRmT1_T2_T3_mT4_P12ihipStream_tbEUlT_E0_NS1_11comp_targetILNS1_3genE5ELNS1_11target_archE942ELNS1_3gpuE9ELNS1_3repE0EEENS1_30default_config_static_selectorELNS0_4arch9wavefront6targetE1EEEvSI_
; %bb.0:
	.section	.rodata,"a",@progbits
	.p2align	6, 0x0
	.amdhsa_kernel _ZN7rocprim17ROCPRIM_400000_NS6detail17trampoline_kernelINS0_14default_configENS1_22reduce_config_selectorIN6thrust23THRUST_200600_302600_NS5tupleIbffNS6_9null_typeES8_S8_S8_S8_S8_S8_EEEEZNS1_11reduce_implILb1ES3_PS9_SC_S9_12reduce_tupleIifEEE10hipError_tPvRmT1_T2_T3_mT4_P12ihipStream_tbEUlT_E0_NS1_11comp_targetILNS1_3genE5ELNS1_11target_archE942ELNS1_3gpuE9ELNS1_3repE0EEENS1_30default_config_static_selectorELNS0_4arch9wavefront6targetE1EEEvSI_
		.amdhsa_group_segment_fixed_size 0
		.amdhsa_private_segment_fixed_size 0
		.amdhsa_kernarg_size 64
		.amdhsa_user_sgpr_count 6
		.amdhsa_user_sgpr_private_segment_buffer 1
		.amdhsa_user_sgpr_dispatch_ptr 0
		.amdhsa_user_sgpr_queue_ptr 0
		.amdhsa_user_sgpr_kernarg_segment_ptr 1
		.amdhsa_user_sgpr_dispatch_id 0
		.amdhsa_user_sgpr_flat_scratch_init 0
		.amdhsa_user_sgpr_private_segment_size 0
		.amdhsa_uses_dynamic_stack 0
		.amdhsa_system_sgpr_private_segment_wavefront_offset 0
		.amdhsa_system_sgpr_workgroup_id_x 1
		.amdhsa_system_sgpr_workgroup_id_y 0
		.amdhsa_system_sgpr_workgroup_id_z 0
		.amdhsa_system_sgpr_workgroup_info 0
		.amdhsa_system_vgpr_workitem_id 0
		.amdhsa_next_free_vgpr 1
		.amdhsa_next_free_sgpr 0
		.amdhsa_reserve_vcc 0
		.amdhsa_reserve_flat_scratch 0
		.amdhsa_float_round_mode_32 0
		.amdhsa_float_round_mode_16_64 0
		.amdhsa_float_denorm_mode_32 3
		.amdhsa_float_denorm_mode_16_64 3
		.amdhsa_dx10_clamp 1
		.amdhsa_ieee_mode 1
		.amdhsa_fp16_overflow 0
		.amdhsa_exception_fp_ieee_invalid_op 0
		.amdhsa_exception_fp_denorm_src 0
		.amdhsa_exception_fp_ieee_div_zero 0
		.amdhsa_exception_fp_ieee_overflow 0
		.amdhsa_exception_fp_ieee_underflow 0
		.amdhsa_exception_fp_ieee_inexact 0
		.amdhsa_exception_int_div_zero 0
	.end_amdhsa_kernel
	.section	.text._ZN7rocprim17ROCPRIM_400000_NS6detail17trampoline_kernelINS0_14default_configENS1_22reduce_config_selectorIN6thrust23THRUST_200600_302600_NS5tupleIbffNS6_9null_typeES8_S8_S8_S8_S8_S8_EEEEZNS1_11reduce_implILb1ES3_PS9_SC_S9_12reduce_tupleIifEEE10hipError_tPvRmT1_T2_T3_mT4_P12ihipStream_tbEUlT_E0_NS1_11comp_targetILNS1_3genE5ELNS1_11target_archE942ELNS1_3gpuE9ELNS1_3repE0EEENS1_30default_config_static_selectorELNS0_4arch9wavefront6targetE1EEEvSI_,"axG",@progbits,_ZN7rocprim17ROCPRIM_400000_NS6detail17trampoline_kernelINS0_14default_configENS1_22reduce_config_selectorIN6thrust23THRUST_200600_302600_NS5tupleIbffNS6_9null_typeES8_S8_S8_S8_S8_S8_EEEEZNS1_11reduce_implILb1ES3_PS9_SC_S9_12reduce_tupleIifEEE10hipError_tPvRmT1_T2_T3_mT4_P12ihipStream_tbEUlT_E0_NS1_11comp_targetILNS1_3genE5ELNS1_11target_archE942ELNS1_3gpuE9ELNS1_3repE0EEENS1_30default_config_static_selectorELNS0_4arch9wavefront6targetE1EEEvSI_,comdat
.Lfunc_end2:
	.size	_ZN7rocprim17ROCPRIM_400000_NS6detail17trampoline_kernelINS0_14default_configENS1_22reduce_config_selectorIN6thrust23THRUST_200600_302600_NS5tupleIbffNS6_9null_typeES8_S8_S8_S8_S8_S8_EEEEZNS1_11reduce_implILb1ES3_PS9_SC_S9_12reduce_tupleIifEEE10hipError_tPvRmT1_T2_T3_mT4_P12ihipStream_tbEUlT_E0_NS1_11comp_targetILNS1_3genE5ELNS1_11target_archE942ELNS1_3gpuE9ELNS1_3repE0EEENS1_30default_config_static_selectorELNS0_4arch9wavefront6targetE1EEEvSI_, .Lfunc_end2-_ZN7rocprim17ROCPRIM_400000_NS6detail17trampoline_kernelINS0_14default_configENS1_22reduce_config_selectorIN6thrust23THRUST_200600_302600_NS5tupleIbffNS6_9null_typeES8_S8_S8_S8_S8_S8_EEEEZNS1_11reduce_implILb1ES3_PS9_SC_S9_12reduce_tupleIifEEE10hipError_tPvRmT1_T2_T3_mT4_P12ihipStream_tbEUlT_E0_NS1_11comp_targetILNS1_3genE5ELNS1_11target_archE942ELNS1_3gpuE9ELNS1_3repE0EEENS1_30default_config_static_selectorELNS0_4arch9wavefront6targetE1EEEvSI_
                                        ; -- End function
	.set _ZN7rocprim17ROCPRIM_400000_NS6detail17trampoline_kernelINS0_14default_configENS1_22reduce_config_selectorIN6thrust23THRUST_200600_302600_NS5tupleIbffNS6_9null_typeES8_S8_S8_S8_S8_S8_EEEEZNS1_11reduce_implILb1ES3_PS9_SC_S9_12reduce_tupleIifEEE10hipError_tPvRmT1_T2_T3_mT4_P12ihipStream_tbEUlT_E0_NS1_11comp_targetILNS1_3genE5ELNS1_11target_archE942ELNS1_3gpuE9ELNS1_3repE0EEENS1_30default_config_static_selectorELNS0_4arch9wavefront6targetE1EEEvSI_.num_vgpr, 0
	.set _ZN7rocprim17ROCPRIM_400000_NS6detail17trampoline_kernelINS0_14default_configENS1_22reduce_config_selectorIN6thrust23THRUST_200600_302600_NS5tupleIbffNS6_9null_typeES8_S8_S8_S8_S8_S8_EEEEZNS1_11reduce_implILb1ES3_PS9_SC_S9_12reduce_tupleIifEEE10hipError_tPvRmT1_T2_T3_mT4_P12ihipStream_tbEUlT_E0_NS1_11comp_targetILNS1_3genE5ELNS1_11target_archE942ELNS1_3gpuE9ELNS1_3repE0EEENS1_30default_config_static_selectorELNS0_4arch9wavefront6targetE1EEEvSI_.num_agpr, 0
	.set _ZN7rocprim17ROCPRIM_400000_NS6detail17trampoline_kernelINS0_14default_configENS1_22reduce_config_selectorIN6thrust23THRUST_200600_302600_NS5tupleIbffNS6_9null_typeES8_S8_S8_S8_S8_S8_EEEEZNS1_11reduce_implILb1ES3_PS9_SC_S9_12reduce_tupleIifEEE10hipError_tPvRmT1_T2_T3_mT4_P12ihipStream_tbEUlT_E0_NS1_11comp_targetILNS1_3genE5ELNS1_11target_archE942ELNS1_3gpuE9ELNS1_3repE0EEENS1_30default_config_static_selectorELNS0_4arch9wavefront6targetE1EEEvSI_.numbered_sgpr, 0
	.set _ZN7rocprim17ROCPRIM_400000_NS6detail17trampoline_kernelINS0_14default_configENS1_22reduce_config_selectorIN6thrust23THRUST_200600_302600_NS5tupleIbffNS6_9null_typeES8_S8_S8_S8_S8_S8_EEEEZNS1_11reduce_implILb1ES3_PS9_SC_S9_12reduce_tupleIifEEE10hipError_tPvRmT1_T2_T3_mT4_P12ihipStream_tbEUlT_E0_NS1_11comp_targetILNS1_3genE5ELNS1_11target_archE942ELNS1_3gpuE9ELNS1_3repE0EEENS1_30default_config_static_selectorELNS0_4arch9wavefront6targetE1EEEvSI_.num_named_barrier, 0
	.set _ZN7rocprim17ROCPRIM_400000_NS6detail17trampoline_kernelINS0_14default_configENS1_22reduce_config_selectorIN6thrust23THRUST_200600_302600_NS5tupleIbffNS6_9null_typeES8_S8_S8_S8_S8_S8_EEEEZNS1_11reduce_implILb1ES3_PS9_SC_S9_12reduce_tupleIifEEE10hipError_tPvRmT1_T2_T3_mT4_P12ihipStream_tbEUlT_E0_NS1_11comp_targetILNS1_3genE5ELNS1_11target_archE942ELNS1_3gpuE9ELNS1_3repE0EEENS1_30default_config_static_selectorELNS0_4arch9wavefront6targetE1EEEvSI_.private_seg_size, 0
	.set _ZN7rocprim17ROCPRIM_400000_NS6detail17trampoline_kernelINS0_14default_configENS1_22reduce_config_selectorIN6thrust23THRUST_200600_302600_NS5tupleIbffNS6_9null_typeES8_S8_S8_S8_S8_S8_EEEEZNS1_11reduce_implILb1ES3_PS9_SC_S9_12reduce_tupleIifEEE10hipError_tPvRmT1_T2_T3_mT4_P12ihipStream_tbEUlT_E0_NS1_11comp_targetILNS1_3genE5ELNS1_11target_archE942ELNS1_3gpuE9ELNS1_3repE0EEENS1_30default_config_static_selectorELNS0_4arch9wavefront6targetE1EEEvSI_.uses_vcc, 0
	.set _ZN7rocprim17ROCPRIM_400000_NS6detail17trampoline_kernelINS0_14default_configENS1_22reduce_config_selectorIN6thrust23THRUST_200600_302600_NS5tupleIbffNS6_9null_typeES8_S8_S8_S8_S8_S8_EEEEZNS1_11reduce_implILb1ES3_PS9_SC_S9_12reduce_tupleIifEEE10hipError_tPvRmT1_T2_T3_mT4_P12ihipStream_tbEUlT_E0_NS1_11comp_targetILNS1_3genE5ELNS1_11target_archE942ELNS1_3gpuE9ELNS1_3repE0EEENS1_30default_config_static_selectorELNS0_4arch9wavefront6targetE1EEEvSI_.uses_flat_scratch, 0
	.set _ZN7rocprim17ROCPRIM_400000_NS6detail17trampoline_kernelINS0_14default_configENS1_22reduce_config_selectorIN6thrust23THRUST_200600_302600_NS5tupleIbffNS6_9null_typeES8_S8_S8_S8_S8_S8_EEEEZNS1_11reduce_implILb1ES3_PS9_SC_S9_12reduce_tupleIifEEE10hipError_tPvRmT1_T2_T3_mT4_P12ihipStream_tbEUlT_E0_NS1_11comp_targetILNS1_3genE5ELNS1_11target_archE942ELNS1_3gpuE9ELNS1_3repE0EEENS1_30default_config_static_selectorELNS0_4arch9wavefront6targetE1EEEvSI_.has_dyn_sized_stack, 0
	.set _ZN7rocprim17ROCPRIM_400000_NS6detail17trampoline_kernelINS0_14default_configENS1_22reduce_config_selectorIN6thrust23THRUST_200600_302600_NS5tupleIbffNS6_9null_typeES8_S8_S8_S8_S8_S8_EEEEZNS1_11reduce_implILb1ES3_PS9_SC_S9_12reduce_tupleIifEEE10hipError_tPvRmT1_T2_T3_mT4_P12ihipStream_tbEUlT_E0_NS1_11comp_targetILNS1_3genE5ELNS1_11target_archE942ELNS1_3gpuE9ELNS1_3repE0EEENS1_30default_config_static_selectorELNS0_4arch9wavefront6targetE1EEEvSI_.has_recursion, 0
	.set _ZN7rocprim17ROCPRIM_400000_NS6detail17trampoline_kernelINS0_14default_configENS1_22reduce_config_selectorIN6thrust23THRUST_200600_302600_NS5tupleIbffNS6_9null_typeES8_S8_S8_S8_S8_S8_EEEEZNS1_11reduce_implILb1ES3_PS9_SC_S9_12reduce_tupleIifEEE10hipError_tPvRmT1_T2_T3_mT4_P12ihipStream_tbEUlT_E0_NS1_11comp_targetILNS1_3genE5ELNS1_11target_archE942ELNS1_3gpuE9ELNS1_3repE0EEENS1_30default_config_static_selectorELNS0_4arch9wavefront6targetE1EEEvSI_.has_indirect_call, 0
	.section	.AMDGPU.csdata,"",@progbits
; Kernel info:
; codeLenInByte = 0
; TotalNumSgprs: 4
; NumVgprs: 0
; ScratchSize: 0
; MemoryBound: 0
; FloatMode: 240
; IeeeMode: 1
; LDSByteSize: 0 bytes/workgroup (compile time only)
; SGPRBlocks: 0
; VGPRBlocks: 0
; NumSGPRsForWavesPerEU: 4
; NumVGPRsForWavesPerEU: 1
; Occupancy: 10
; WaveLimiterHint : 0
; COMPUTE_PGM_RSRC2:SCRATCH_EN: 0
; COMPUTE_PGM_RSRC2:USER_SGPR: 6
; COMPUTE_PGM_RSRC2:TRAP_HANDLER: 0
; COMPUTE_PGM_RSRC2:TGID_X_EN: 1
; COMPUTE_PGM_RSRC2:TGID_Y_EN: 0
; COMPUTE_PGM_RSRC2:TGID_Z_EN: 0
; COMPUTE_PGM_RSRC2:TIDIG_COMP_CNT: 0
	.section	.text._ZN7rocprim17ROCPRIM_400000_NS6detail17trampoline_kernelINS0_14default_configENS1_22reduce_config_selectorIN6thrust23THRUST_200600_302600_NS5tupleIbffNS6_9null_typeES8_S8_S8_S8_S8_S8_EEEEZNS1_11reduce_implILb1ES3_PS9_SC_S9_12reduce_tupleIifEEE10hipError_tPvRmT1_T2_T3_mT4_P12ihipStream_tbEUlT_E0_NS1_11comp_targetILNS1_3genE4ELNS1_11target_archE910ELNS1_3gpuE8ELNS1_3repE0EEENS1_30default_config_static_selectorELNS0_4arch9wavefront6targetE1EEEvSI_,"axG",@progbits,_ZN7rocprim17ROCPRIM_400000_NS6detail17trampoline_kernelINS0_14default_configENS1_22reduce_config_selectorIN6thrust23THRUST_200600_302600_NS5tupleIbffNS6_9null_typeES8_S8_S8_S8_S8_S8_EEEEZNS1_11reduce_implILb1ES3_PS9_SC_S9_12reduce_tupleIifEEE10hipError_tPvRmT1_T2_T3_mT4_P12ihipStream_tbEUlT_E0_NS1_11comp_targetILNS1_3genE4ELNS1_11target_archE910ELNS1_3gpuE8ELNS1_3repE0EEENS1_30default_config_static_selectorELNS0_4arch9wavefront6targetE1EEEvSI_,comdat
	.protected	_ZN7rocprim17ROCPRIM_400000_NS6detail17trampoline_kernelINS0_14default_configENS1_22reduce_config_selectorIN6thrust23THRUST_200600_302600_NS5tupleIbffNS6_9null_typeES8_S8_S8_S8_S8_S8_EEEEZNS1_11reduce_implILb1ES3_PS9_SC_S9_12reduce_tupleIifEEE10hipError_tPvRmT1_T2_T3_mT4_P12ihipStream_tbEUlT_E0_NS1_11comp_targetILNS1_3genE4ELNS1_11target_archE910ELNS1_3gpuE8ELNS1_3repE0EEENS1_30default_config_static_selectorELNS0_4arch9wavefront6targetE1EEEvSI_ ; -- Begin function _ZN7rocprim17ROCPRIM_400000_NS6detail17trampoline_kernelINS0_14default_configENS1_22reduce_config_selectorIN6thrust23THRUST_200600_302600_NS5tupleIbffNS6_9null_typeES8_S8_S8_S8_S8_S8_EEEEZNS1_11reduce_implILb1ES3_PS9_SC_S9_12reduce_tupleIifEEE10hipError_tPvRmT1_T2_T3_mT4_P12ihipStream_tbEUlT_E0_NS1_11comp_targetILNS1_3genE4ELNS1_11target_archE910ELNS1_3gpuE8ELNS1_3repE0EEENS1_30default_config_static_selectorELNS0_4arch9wavefront6targetE1EEEvSI_
	.globl	_ZN7rocprim17ROCPRIM_400000_NS6detail17trampoline_kernelINS0_14default_configENS1_22reduce_config_selectorIN6thrust23THRUST_200600_302600_NS5tupleIbffNS6_9null_typeES8_S8_S8_S8_S8_S8_EEEEZNS1_11reduce_implILb1ES3_PS9_SC_S9_12reduce_tupleIifEEE10hipError_tPvRmT1_T2_T3_mT4_P12ihipStream_tbEUlT_E0_NS1_11comp_targetILNS1_3genE4ELNS1_11target_archE910ELNS1_3gpuE8ELNS1_3repE0EEENS1_30default_config_static_selectorELNS0_4arch9wavefront6targetE1EEEvSI_
	.p2align	8
	.type	_ZN7rocprim17ROCPRIM_400000_NS6detail17trampoline_kernelINS0_14default_configENS1_22reduce_config_selectorIN6thrust23THRUST_200600_302600_NS5tupleIbffNS6_9null_typeES8_S8_S8_S8_S8_S8_EEEEZNS1_11reduce_implILb1ES3_PS9_SC_S9_12reduce_tupleIifEEE10hipError_tPvRmT1_T2_T3_mT4_P12ihipStream_tbEUlT_E0_NS1_11comp_targetILNS1_3genE4ELNS1_11target_archE910ELNS1_3gpuE8ELNS1_3repE0EEENS1_30default_config_static_selectorELNS0_4arch9wavefront6targetE1EEEvSI_,@function
_ZN7rocprim17ROCPRIM_400000_NS6detail17trampoline_kernelINS0_14default_configENS1_22reduce_config_selectorIN6thrust23THRUST_200600_302600_NS5tupleIbffNS6_9null_typeES8_S8_S8_S8_S8_S8_EEEEZNS1_11reduce_implILb1ES3_PS9_SC_S9_12reduce_tupleIifEEE10hipError_tPvRmT1_T2_T3_mT4_P12ihipStream_tbEUlT_E0_NS1_11comp_targetILNS1_3genE4ELNS1_11target_archE910ELNS1_3gpuE8ELNS1_3repE0EEENS1_30default_config_static_selectorELNS0_4arch9wavefront6targetE1EEEvSI_: ; @_ZN7rocprim17ROCPRIM_400000_NS6detail17trampoline_kernelINS0_14default_configENS1_22reduce_config_selectorIN6thrust23THRUST_200600_302600_NS5tupleIbffNS6_9null_typeES8_S8_S8_S8_S8_S8_EEEEZNS1_11reduce_implILb1ES3_PS9_SC_S9_12reduce_tupleIifEEE10hipError_tPvRmT1_T2_T3_mT4_P12ihipStream_tbEUlT_E0_NS1_11comp_targetILNS1_3genE4ELNS1_11target_archE910ELNS1_3gpuE8ELNS1_3repE0EEENS1_30default_config_static_selectorELNS0_4arch9wavefront6targetE1EEEvSI_
; %bb.0:
	.section	.rodata,"a",@progbits
	.p2align	6, 0x0
	.amdhsa_kernel _ZN7rocprim17ROCPRIM_400000_NS6detail17trampoline_kernelINS0_14default_configENS1_22reduce_config_selectorIN6thrust23THRUST_200600_302600_NS5tupleIbffNS6_9null_typeES8_S8_S8_S8_S8_S8_EEEEZNS1_11reduce_implILb1ES3_PS9_SC_S9_12reduce_tupleIifEEE10hipError_tPvRmT1_T2_T3_mT4_P12ihipStream_tbEUlT_E0_NS1_11comp_targetILNS1_3genE4ELNS1_11target_archE910ELNS1_3gpuE8ELNS1_3repE0EEENS1_30default_config_static_selectorELNS0_4arch9wavefront6targetE1EEEvSI_
		.amdhsa_group_segment_fixed_size 0
		.amdhsa_private_segment_fixed_size 0
		.amdhsa_kernarg_size 64
		.amdhsa_user_sgpr_count 6
		.amdhsa_user_sgpr_private_segment_buffer 1
		.amdhsa_user_sgpr_dispatch_ptr 0
		.amdhsa_user_sgpr_queue_ptr 0
		.amdhsa_user_sgpr_kernarg_segment_ptr 1
		.amdhsa_user_sgpr_dispatch_id 0
		.amdhsa_user_sgpr_flat_scratch_init 0
		.amdhsa_user_sgpr_private_segment_size 0
		.amdhsa_uses_dynamic_stack 0
		.amdhsa_system_sgpr_private_segment_wavefront_offset 0
		.amdhsa_system_sgpr_workgroup_id_x 1
		.amdhsa_system_sgpr_workgroup_id_y 0
		.amdhsa_system_sgpr_workgroup_id_z 0
		.amdhsa_system_sgpr_workgroup_info 0
		.amdhsa_system_vgpr_workitem_id 0
		.amdhsa_next_free_vgpr 1
		.amdhsa_next_free_sgpr 0
		.amdhsa_reserve_vcc 0
		.amdhsa_reserve_flat_scratch 0
		.amdhsa_float_round_mode_32 0
		.amdhsa_float_round_mode_16_64 0
		.amdhsa_float_denorm_mode_32 3
		.amdhsa_float_denorm_mode_16_64 3
		.amdhsa_dx10_clamp 1
		.amdhsa_ieee_mode 1
		.amdhsa_fp16_overflow 0
		.amdhsa_exception_fp_ieee_invalid_op 0
		.amdhsa_exception_fp_denorm_src 0
		.amdhsa_exception_fp_ieee_div_zero 0
		.amdhsa_exception_fp_ieee_overflow 0
		.amdhsa_exception_fp_ieee_underflow 0
		.amdhsa_exception_fp_ieee_inexact 0
		.amdhsa_exception_int_div_zero 0
	.end_amdhsa_kernel
	.section	.text._ZN7rocprim17ROCPRIM_400000_NS6detail17trampoline_kernelINS0_14default_configENS1_22reduce_config_selectorIN6thrust23THRUST_200600_302600_NS5tupleIbffNS6_9null_typeES8_S8_S8_S8_S8_S8_EEEEZNS1_11reduce_implILb1ES3_PS9_SC_S9_12reduce_tupleIifEEE10hipError_tPvRmT1_T2_T3_mT4_P12ihipStream_tbEUlT_E0_NS1_11comp_targetILNS1_3genE4ELNS1_11target_archE910ELNS1_3gpuE8ELNS1_3repE0EEENS1_30default_config_static_selectorELNS0_4arch9wavefront6targetE1EEEvSI_,"axG",@progbits,_ZN7rocprim17ROCPRIM_400000_NS6detail17trampoline_kernelINS0_14default_configENS1_22reduce_config_selectorIN6thrust23THRUST_200600_302600_NS5tupleIbffNS6_9null_typeES8_S8_S8_S8_S8_S8_EEEEZNS1_11reduce_implILb1ES3_PS9_SC_S9_12reduce_tupleIifEEE10hipError_tPvRmT1_T2_T3_mT4_P12ihipStream_tbEUlT_E0_NS1_11comp_targetILNS1_3genE4ELNS1_11target_archE910ELNS1_3gpuE8ELNS1_3repE0EEENS1_30default_config_static_selectorELNS0_4arch9wavefront6targetE1EEEvSI_,comdat
.Lfunc_end3:
	.size	_ZN7rocprim17ROCPRIM_400000_NS6detail17trampoline_kernelINS0_14default_configENS1_22reduce_config_selectorIN6thrust23THRUST_200600_302600_NS5tupleIbffNS6_9null_typeES8_S8_S8_S8_S8_S8_EEEEZNS1_11reduce_implILb1ES3_PS9_SC_S9_12reduce_tupleIifEEE10hipError_tPvRmT1_T2_T3_mT4_P12ihipStream_tbEUlT_E0_NS1_11comp_targetILNS1_3genE4ELNS1_11target_archE910ELNS1_3gpuE8ELNS1_3repE0EEENS1_30default_config_static_selectorELNS0_4arch9wavefront6targetE1EEEvSI_, .Lfunc_end3-_ZN7rocprim17ROCPRIM_400000_NS6detail17trampoline_kernelINS0_14default_configENS1_22reduce_config_selectorIN6thrust23THRUST_200600_302600_NS5tupleIbffNS6_9null_typeES8_S8_S8_S8_S8_S8_EEEEZNS1_11reduce_implILb1ES3_PS9_SC_S9_12reduce_tupleIifEEE10hipError_tPvRmT1_T2_T3_mT4_P12ihipStream_tbEUlT_E0_NS1_11comp_targetILNS1_3genE4ELNS1_11target_archE910ELNS1_3gpuE8ELNS1_3repE0EEENS1_30default_config_static_selectorELNS0_4arch9wavefront6targetE1EEEvSI_
                                        ; -- End function
	.set _ZN7rocprim17ROCPRIM_400000_NS6detail17trampoline_kernelINS0_14default_configENS1_22reduce_config_selectorIN6thrust23THRUST_200600_302600_NS5tupleIbffNS6_9null_typeES8_S8_S8_S8_S8_S8_EEEEZNS1_11reduce_implILb1ES3_PS9_SC_S9_12reduce_tupleIifEEE10hipError_tPvRmT1_T2_T3_mT4_P12ihipStream_tbEUlT_E0_NS1_11comp_targetILNS1_3genE4ELNS1_11target_archE910ELNS1_3gpuE8ELNS1_3repE0EEENS1_30default_config_static_selectorELNS0_4arch9wavefront6targetE1EEEvSI_.num_vgpr, 0
	.set _ZN7rocprim17ROCPRIM_400000_NS6detail17trampoline_kernelINS0_14default_configENS1_22reduce_config_selectorIN6thrust23THRUST_200600_302600_NS5tupleIbffNS6_9null_typeES8_S8_S8_S8_S8_S8_EEEEZNS1_11reduce_implILb1ES3_PS9_SC_S9_12reduce_tupleIifEEE10hipError_tPvRmT1_T2_T3_mT4_P12ihipStream_tbEUlT_E0_NS1_11comp_targetILNS1_3genE4ELNS1_11target_archE910ELNS1_3gpuE8ELNS1_3repE0EEENS1_30default_config_static_selectorELNS0_4arch9wavefront6targetE1EEEvSI_.num_agpr, 0
	.set _ZN7rocprim17ROCPRIM_400000_NS6detail17trampoline_kernelINS0_14default_configENS1_22reduce_config_selectorIN6thrust23THRUST_200600_302600_NS5tupleIbffNS6_9null_typeES8_S8_S8_S8_S8_S8_EEEEZNS1_11reduce_implILb1ES3_PS9_SC_S9_12reduce_tupleIifEEE10hipError_tPvRmT1_T2_T3_mT4_P12ihipStream_tbEUlT_E0_NS1_11comp_targetILNS1_3genE4ELNS1_11target_archE910ELNS1_3gpuE8ELNS1_3repE0EEENS1_30default_config_static_selectorELNS0_4arch9wavefront6targetE1EEEvSI_.numbered_sgpr, 0
	.set _ZN7rocprim17ROCPRIM_400000_NS6detail17trampoline_kernelINS0_14default_configENS1_22reduce_config_selectorIN6thrust23THRUST_200600_302600_NS5tupleIbffNS6_9null_typeES8_S8_S8_S8_S8_S8_EEEEZNS1_11reduce_implILb1ES3_PS9_SC_S9_12reduce_tupleIifEEE10hipError_tPvRmT1_T2_T3_mT4_P12ihipStream_tbEUlT_E0_NS1_11comp_targetILNS1_3genE4ELNS1_11target_archE910ELNS1_3gpuE8ELNS1_3repE0EEENS1_30default_config_static_selectorELNS0_4arch9wavefront6targetE1EEEvSI_.num_named_barrier, 0
	.set _ZN7rocprim17ROCPRIM_400000_NS6detail17trampoline_kernelINS0_14default_configENS1_22reduce_config_selectorIN6thrust23THRUST_200600_302600_NS5tupleIbffNS6_9null_typeES8_S8_S8_S8_S8_S8_EEEEZNS1_11reduce_implILb1ES3_PS9_SC_S9_12reduce_tupleIifEEE10hipError_tPvRmT1_T2_T3_mT4_P12ihipStream_tbEUlT_E0_NS1_11comp_targetILNS1_3genE4ELNS1_11target_archE910ELNS1_3gpuE8ELNS1_3repE0EEENS1_30default_config_static_selectorELNS0_4arch9wavefront6targetE1EEEvSI_.private_seg_size, 0
	.set _ZN7rocprim17ROCPRIM_400000_NS6detail17trampoline_kernelINS0_14default_configENS1_22reduce_config_selectorIN6thrust23THRUST_200600_302600_NS5tupleIbffNS6_9null_typeES8_S8_S8_S8_S8_S8_EEEEZNS1_11reduce_implILb1ES3_PS9_SC_S9_12reduce_tupleIifEEE10hipError_tPvRmT1_T2_T3_mT4_P12ihipStream_tbEUlT_E0_NS1_11comp_targetILNS1_3genE4ELNS1_11target_archE910ELNS1_3gpuE8ELNS1_3repE0EEENS1_30default_config_static_selectorELNS0_4arch9wavefront6targetE1EEEvSI_.uses_vcc, 0
	.set _ZN7rocprim17ROCPRIM_400000_NS6detail17trampoline_kernelINS0_14default_configENS1_22reduce_config_selectorIN6thrust23THRUST_200600_302600_NS5tupleIbffNS6_9null_typeES8_S8_S8_S8_S8_S8_EEEEZNS1_11reduce_implILb1ES3_PS9_SC_S9_12reduce_tupleIifEEE10hipError_tPvRmT1_T2_T3_mT4_P12ihipStream_tbEUlT_E0_NS1_11comp_targetILNS1_3genE4ELNS1_11target_archE910ELNS1_3gpuE8ELNS1_3repE0EEENS1_30default_config_static_selectorELNS0_4arch9wavefront6targetE1EEEvSI_.uses_flat_scratch, 0
	.set _ZN7rocprim17ROCPRIM_400000_NS6detail17trampoline_kernelINS0_14default_configENS1_22reduce_config_selectorIN6thrust23THRUST_200600_302600_NS5tupleIbffNS6_9null_typeES8_S8_S8_S8_S8_S8_EEEEZNS1_11reduce_implILb1ES3_PS9_SC_S9_12reduce_tupleIifEEE10hipError_tPvRmT1_T2_T3_mT4_P12ihipStream_tbEUlT_E0_NS1_11comp_targetILNS1_3genE4ELNS1_11target_archE910ELNS1_3gpuE8ELNS1_3repE0EEENS1_30default_config_static_selectorELNS0_4arch9wavefront6targetE1EEEvSI_.has_dyn_sized_stack, 0
	.set _ZN7rocprim17ROCPRIM_400000_NS6detail17trampoline_kernelINS0_14default_configENS1_22reduce_config_selectorIN6thrust23THRUST_200600_302600_NS5tupleIbffNS6_9null_typeES8_S8_S8_S8_S8_S8_EEEEZNS1_11reduce_implILb1ES3_PS9_SC_S9_12reduce_tupleIifEEE10hipError_tPvRmT1_T2_T3_mT4_P12ihipStream_tbEUlT_E0_NS1_11comp_targetILNS1_3genE4ELNS1_11target_archE910ELNS1_3gpuE8ELNS1_3repE0EEENS1_30default_config_static_selectorELNS0_4arch9wavefront6targetE1EEEvSI_.has_recursion, 0
	.set _ZN7rocprim17ROCPRIM_400000_NS6detail17trampoline_kernelINS0_14default_configENS1_22reduce_config_selectorIN6thrust23THRUST_200600_302600_NS5tupleIbffNS6_9null_typeES8_S8_S8_S8_S8_S8_EEEEZNS1_11reduce_implILb1ES3_PS9_SC_S9_12reduce_tupleIifEEE10hipError_tPvRmT1_T2_T3_mT4_P12ihipStream_tbEUlT_E0_NS1_11comp_targetILNS1_3genE4ELNS1_11target_archE910ELNS1_3gpuE8ELNS1_3repE0EEENS1_30default_config_static_selectorELNS0_4arch9wavefront6targetE1EEEvSI_.has_indirect_call, 0
	.section	.AMDGPU.csdata,"",@progbits
; Kernel info:
; codeLenInByte = 0
; TotalNumSgprs: 4
; NumVgprs: 0
; ScratchSize: 0
; MemoryBound: 0
; FloatMode: 240
; IeeeMode: 1
; LDSByteSize: 0 bytes/workgroup (compile time only)
; SGPRBlocks: 0
; VGPRBlocks: 0
; NumSGPRsForWavesPerEU: 4
; NumVGPRsForWavesPerEU: 1
; Occupancy: 10
; WaveLimiterHint : 0
; COMPUTE_PGM_RSRC2:SCRATCH_EN: 0
; COMPUTE_PGM_RSRC2:USER_SGPR: 6
; COMPUTE_PGM_RSRC2:TRAP_HANDLER: 0
; COMPUTE_PGM_RSRC2:TGID_X_EN: 1
; COMPUTE_PGM_RSRC2:TGID_Y_EN: 0
; COMPUTE_PGM_RSRC2:TGID_Z_EN: 0
; COMPUTE_PGM_RSRC2:TIDIG_COMP_CNT: 0
	.section	.text._ZN7rocprim17ROCPRIM_400000_NS6detail17trampoline_kernelINS0_14default_configENS1_22reduce_config_selectorIN6thrust23THRUST_200600_302600_NS5tupleIbffNS6_9null_typeES8_S8_S8_S8_S8_S8_EEEEZNS1_11reduce_implILb1ES3_PS9_SC_S9_12reduce_tupleIifEEE10hipError_tPvRmT1_T2_T3_mT4_P12ihipStream_tbEUlT_E0_NS1_11comp_targetILNS1_3genE3ELNS1_11target_archE908ELNS1_3gpuE7ELNS1_3repE0EEENS1_30default_config_static_selectorELNS0_4arch9wavefront6targetE1EEEvSI_,"axG",@progbits,_ZN7rocprim17ROCPRIM_400000_NS6detail17trampoline_kernelINS0_14default_configENS1_22reduce_config_selectorIN6thrust23THRUST_200600_302600_NS5tupleIbffNS6_9null_typeES8_S8_S8_S8_S8_S8_EEEEZNS1_11reduce_implILb1ES3_PS9_SC_S9_12reduce_tupleIifEEE10hipError_tPvRmT1_T2_T3_mT4_P12ihipStream_tbEUlT_E0_NS1_11comp_targetILNS1_3genE3ELNS1_11target_archE908ELNS1_3gpuE7ELNS1_3repE0EEENS1_30default_config_static_selectorELNS0_4arch9wavefront6targetE1EEEvSI_,comdat
	.protected	_ZN7rocprim17ROCPRIM_400000_NS6detail17trampoline_kernelINS0_14default_configENS1_22reduce_config_selectorIN6thrust23THRUST_200600_302600_NS5tupleIbffNS6_9null_typeES8_S8_S8_S8_S8_S8_EEEEZNS1_11reduce_implILb1ES3_PS9_SC_S9_12reduce_tupleIifEEE10hipError_tPvRmT1_T2_T3_mT4_P12ihipStream_tbEUlT_E0_NS1_11comp_targetILNS1_3genE3ELNS1_11target_archE908ELNS1_3gpuE7ELNS1_3repE0EEENS1_30default_config_static_selectorELNS0_4arch9wavefront6targetE1EEEvSI_ ; -- Begin function _ZN7rocprim17ROCPRIM_400000_NS6detail17trampoline_kernelINS0_14default_configENS1_22reduce_config_selectorIN6thrust23THRUST_200600_302600_NS5tupleIbffNS6_9null_typeES8_S8_S8_S8_S8_S8_EEEEZNS1_11reduce_implILb1ES3_PS9_SC_S9_12reduce_tupleIifEEE10hipError_tPvRmT1_T2_T3_mT4_P12ihipStream_tbEUlT_E0_NS1_11comp_targetILNS1_3genE3ELNS1_11target_archE908ELNS1_3gpuE7ELNS1_3repE0EEENS1_30default_config_static_selectorELNS0_4arch9wavefront6targetE1EEEvSI_
	.globl	_ZN7rocprim17ROCPRIM_400000_NS6detail17trampoline_kernelINS0_14default_configENS1_22reduce_config_selectorIN6thrust23THRUST_200600_302600_NS5tupleIbffNS6_9null_typeES8_S8_S8_S8_S8_S8_EEEEZNS1_11reduce_implILb1ES3_PS9_SC_S9_12reduce_tupleIifEEE10hipError_tPvRmT1_T2_T3_mT4_P12ihipStream_tbEUlT_E0_NS1_11comp_targetILNS1_3genE3ELNS1_11target_archE908ELNS1_3gpuE7ELNS1_3repE0EEENS1_30default_config_static_selectorELNS0_4arch9wavefront6targetE1EEEvSI_
	.p2align	8
	.type	_ZN7rocprim17ROCPRIM_400000_NS6detail17trampoline_kernelINS0_14default_configENS1_22reduce_config_selectorIN6thrust23THRUST_200600_302600_NS5tupleIbffNS6_9null_typeES8_S8_S8_S8_S8_S8_EEEEZNS1_11reduce_implILb1ES3_PS9_SC_S9_12reduce_tupleIifEEE10hipError_tPvRmT1_T2_T3_mT4_P12ihipStream_tbEUlT_E0_NS1_11comp_targetILNS1_3genE3ELNS1_11target_archE908ELNS1_3gpuE7ELNS1_3repE0EEENS1_30default_config_static_selectorELNS0_4arch9wavefront6targetE1EEEvSI_,@function
_ZN7rocprim17ROCPRIM_400000_NS6detail17trampoline_kernelINS0_14default_configENS1_22reduce_config_selectorIN6thrust23THRUST_200600_302600_NS5tupleIbffNS6_9null_typeES8_S8_S8_S8_S8_S8_EEEEZNS1_11reduce_implILb1ES3_PS9_SC_S9_12reduce_tupleIifEEE10hipError_tPvRmT1_T2_T3_mT4_P12ihipStream_tbEUlT_E0_NS1_11comp_targetILNS1_3genE3ELNS1_11target_archE908ELNS1_3gpuE7ELNS1_3repE0EEENS1_30default_config_static_selectorELNS0_4arch9wavefront6targetE1EEEvSI_: ; @_ZN7rocprim17ROCPRIM_400000_NS6detail17trampoline_kernelINS0_14default_configENS1_22reduce_config_selectorIN6thrust23THRUST_200600_302600_NS5tupleIbffNS6_9null_typeES8_S8_S8_S8_S8_S8_EEEEZNS1_11reduce_implILb1ES3_PS9_SC_S9_12reduce_tupleIifEEE10hipError_tPvRmT1_T2_T3_mT4_P12ihipStream_tbEUlT_E0_NS1_11comp_targetILNS1_3genE3ELNS1_11target_archE908ELNS1_3gpuE7ELNS1_3repE0EEENS1_30default_config_static_selectorELNS0_4arch9wavefront6targetE1EEEvSI_
; %bb.0:
	.section	.rodata,"a",@progbits
	.p2align	6, 0x0
	.amdhsa_kernel _ZN7rocprim17ROCPRIM_400000_NS6detail17trampoline_kernelINS0_14default_configENS1_22reduce_config_selectorIN6thrust23THRUST_200600_302600_NS5tupleIbffNS6_9null_typeES8_S8_S8_S8_S8_S8_EEEEZNS1_11reduce_implILb1ES3_PS9_SC_S9_12reduce_tupleIifEEE10hipError_tPvRmT1_T2_T3_mT4_P12ihipStream_tbEUlT_E0_NS1_11comp_targetILNS1_3genE3ELNS1_11target_archE908ELNS1_3gpuE7ELNS1_3repE0EEENS1_30default_config_static_selectorELNS0_4arch9wavefront6targetE1EEEvSI_
		.amdhsa_group_segment_fixed_size 0
		.amdhsa_private_segment_fixed_size 0
		.amdhsa_kernarg_size 64
		.amdhsa_user_sgpr_count 6
		.amdhsa_user_sgpr_private_segment_buffer 1
		.amdhsa_user_sgpr_dispatch_ptr 0
		.amdhsa_user_sgpr_queue_ptr 0
		.amdhsa_user_sgpr_kernarg_segment_ptr 1
		.amdhsa_user_sgpr_dispatch_id 0
		.amdhsa_user_sgpr_flat_scratch_init 0
		.amdhsa_user_sgpr_private_segment_size 0
		.amdhsa_uses_dynamic_stack 0
		.amdhsa_system_sgpr_private_segment_wavefront_offset 0
		.amdhsa_system_sgpr_workgroup_id_x 1
		.amdhsa_system_sgpr_workgroup_id_y 0
		.amdhsa_system_sgpr_workgroup_id_z 0
		.amdhsa_system_sgpr_workgroup_info 0
		.amdhsa_system_vgpr_workitem_id 0
		.amdhsa_next_free_vgpr 1
		.amdhsa_next_free_sgpr 0
		.amdhsa_reserve_vcc 0
		.amdhsa_reserve_flat_scratch 0
		.amdhsa_float_round_mode_32 0
		.amdhsa_float_round_mode_16_64 0
		.amdhsa_float_denorm_mode_32 3
		.amdhsa_float_denorm_mode_16_64 3
		.amdhsa_dx10_clamp 1
		.amdhsa_ieee_mode 1
		.amdhsa_fp16_overflow 0
		.amdhsa_exception_fp_ieee_invalid_op 0
		.amdhsa_exception_fp_denorm_src 0
		.amdhsa_exception_fp_ieee_div_zero 0
		.amdhsa_exception_fp_ieee_overflow 0
		.amdhsa_exception_fp_ieee_underflow 0
		.amdhsa_exception_fp_ieee_inexact 0
		.amdhsa_exception_int_div_zero 0
	.end_amdhsa_kernel
	.section	.text._ZN7rocprim17ROCPRIM_400000_NS6detail17trampoline_kernelINS0_14default_configENS1_22reduce_config_selectorIN6thrust23THRUST_200600_302600_NS5tupleIbffNS6_9null_typeES8_S8_S8_S8_S8_S8_EEEEZNS1_11reduce_implILb1ES3_PS9_SC_S9_12reduce_tupleIifEEE10hipError_tPvRmT1_T2_T3_mT4_P12ihipStream_tbEUlT_E0_NS1_11comp_targetILNS1_3genE3ELNS1_11target_archE908ELNS1_3gpuE7ELNS1_3repE0EEENS1_30default_config_static_selectorELNS0_4arch9wavefront6targetE1EEEvSI_,"axG",@progbits,_ZN7rocprim17ROCPRIM_400000_NS6detail17trampoline_kernelINS0_14default_configENS1_22reduce_config_selectorIN6thrust23THRUST_200600_302600_NS5tupleIbffNS6_9null_typeES8_S8_S8_S8_S8_S8_EEEEZNS1_11reduce_implILb1ES3_PS9_SC_S9_12reduce_tupleIifEEE10hipError_tPvRmT1_T2_T3_mT4_P12ihipStream_tbEUlT_E0_NS1_11comp_targetILNS1_3genE3ELNS1_11target_archE908ELNS1_3gpuE7ELNS1_3repE0EEENS1_30default_config_static_selectorELNS0_4arch9wavefront6targetE1EEEvSI_,comdat
.Lfunc_end4:
	.size	_ZN7rocprim17ROCPRIM_400000_NS6detail17trampoline_kernelINS0_14default_configENS1_22reduce_config_selectorIN6thrust23THRUST_200600_302600_NS5tupleIbffNS6_9null_typeES8_S8_S8_S8_S8_S8_EEEEZNS1_11reduce_implILb1ES3_PS9_SC_S9_12reduce_tupleIifEEE10hipError_tPvRmT1_T2_T3_mT4_P12ihipStream_tbEUlT_E0_NS1_11comp_targetILNS1_3genE3ELNS1_11target_archE908ELNS1_3gpuE7ELNS1_3repE0EEENS1_30default_config_static_selectorELNS0_4arch9wavefront6targetE1EEEvSI_, .Lfunc_end4-_ZN7rocprim17ROCPRIM_400000_NS6detail17trampoline_kernelINS0_14default_configENS1_22reduce_config_selectorIN6thrust23THRUST_200600_302600_NS5tupleIbffNS6_9null_typeES8_S8_S8_S8_S8_S8_EEEEZNS1_11reduce_implILb1ES3_PS9_SC_S9_12reduce_tupleIifEEE10hipError_tPvRmT1_T2_T3_mT4_P12ihipStream_tbEUlT_E0_NS1_11comp_targetILNS1_3genE3ELNS1_11target_archE908ELNS1_3gpuE7ELNS1_3repE0EEENS1_30default_config_static_selectorELNS0_4arch9wavefront6targetE1EEEvSI_
                                        ; -- End function
	.set _ZN7rocprim17ROCPRIM_400000_NS6detail17trampoline_kernelINS0_14default_configENS1_22reduce_config_selectorIN6thrust23THRUST_200600_302600_NS5tupleIbffNS6_9null_typeES8_S8_S8_S8_S8_S8_EEEEZNS1_11reduce_implILb1ES3_PS9_SC_S9_12reduce_tupleIifEEE10hipError_tPvRmT1_T2_T3_mT4_P12ihipStream_tbEUlT_E0_NS1_11comp_targetILNS1_3genE3ELNS1_11target_archE908ELNS1_3gpuE7ELNS1_3repE0EEENS1_30default_config_static_selectorELNS0_4arch9wavefront6targetE1EEEvSI_.num_vgpr, 0
	.set _ZN7rocprim17ROCPRIM_400000_NS6detail17trampoline_kernelINS0_14default_configENS1_22reduce_config_selectorIN6thrust23THRUST_200600_302600_NS5tupleIbffNS6_9null_typeES8_S8_S8_S8_S8_S8_EEEEZNS1_11reduce_implILb1ES3_PS9_SC_S9_12reduce_tupleIifEEE10hipError_tPvRmT1_T2_T3_mT4_P12ihipStream_tbEUlT_E0_NS1_11comp_targetILNS1_3genE3ELNS1_11target_archE908ELNS1_3gpuE7ELNS1_3repE0EEENS1_30default_config_static_selectorELNS0_4arch9wavefront6targetE1EEEvSI_.num_agpr, 0
	.set _ZN7rocprim17ROCPRIM_400000_NS6detail17trampoline_kernelINS0_14default_configENS1_22reduce_config_selectorIN6thrust23THRUST_200600_302600_NS5tupleIbffNS6_9null_typeES8_S8_S8_S8_S8_S8_EEEEZNS1_11reduce_implILb1ES3_PS9_SC_S9_12reduce_tupleIifEEE10hipError_tPvRmT1_T2_T3_mT4_P12ihipStream_tbEUlT_E0_NS1_11comp_targetILNS1_3genE3ELNS1_11target_archE908ELNS1_3gpuE7ELNS1_3repE0EEENS1_30default_config_static_selectorELNS0_4arch9wavefront6targetE1EEEvSI_.numbered_sgpr, 0
	.set _ZN7rocprim17ROCPRIM_400000_NS6detail17trampoline_kernelINS0_14default_configENS1_22reduce_config_selectorIN6thrust23THRUST_200600_302600_NS5tupleIbffNS6_9null_typeES8_S8_S8_S8_S8_S8_EEEEZNS1_11reduce_implILb1ES3_PS9_SC_S9_12reduce_tupleIifEEE10hipError_tPvRmT1_T2_T3_mT4_P12ihipStream_tbEUlT_E0_NS1_11comp_targetILNS1_3genE3ELNS1_11target_archE908ELNS1_3gpuE7ELNS1_3repE0EEENS1_30default_config_static_selectorELNS0_4arch9wavefront6targetE1EEEvSI_.num_named_barrier, 0
	.set _ZN7rocprim17ROCPRIM_400000_NS6detail17trampoline_kernelINS0_14default_configENS1_22reduce_config_selectorIN6thrust23THRUST_200600_302600_NS5tupleIbffNS6_9null_typeES8_S8_S8_S8_S8_S8_EEEEZNS1_11reduce_implILb1ES3_PS9_SC_S9_12reduce_tupleIifEEE10hipError_tPvRmT1_T2_T3_mT4_P12ihipStream_tbEUlT_E0_NS1_11comp_targetILNS1_3genE3ELNS1_11target_archE908ELNS1_3gpuE7ELNS1_3repE0EEENS1_30default_config_static_selectorELNS0_4arch9wavefront6targetE1EEEvSI_.private_seg_size, 0
	.set _ZN7rocprim17ROCPRIM_400000_NS6detail17trampoline_kernelINS0_14default_configENS1_22reduce_config_selectorIN6thrust23THRUST_200600_302600_NS5tupleIbffNS6_9null_typeES8_S8_S8_S8_S8_S8_EEEEZNS1_11reduce_implILb1ES3_PS9_SC_S9_12reduce_tupleIifEEE10hipError_tPvRmT1_T2_T3_mT4_P12ihipStream_tbEUlT_E0_NS1_11comp_targetILNS1_3genE3ELNS1_11target_archE908ELNS1_3gpuE7ELNS1_3repE0EEENS1_30default_config_static_selectorELNS0_4arch9wavefront6targetE1EEEvSI_.uses_vcc, 0
	.set _ZN7rocprim17ROCPRIM_400000_NS6detail17trampoline_kernelINS0_14default_configENS1_22reduce_config_selectorIN6thrust23THRUST_200600_302600_NS5tupleIbffNS6_9null_typeES8_S8_S8_S8_S8_S8_EEEEZNS1_11reduce_implILb1ES3_PS9_SC_S9_12reduce_tupleIifEEE10hipError_tPvRmT1_T2_T3_mT4_P12ihipStream_tbEUlT_E0_NS1_11comp_targetILNS1_3genE3ELNS1_11target_archE908ELNS1_3gpuE7ELNS1_3repE0EEENS1_30default_config_static_selectorELNS0_4arch9wavefront6targetE1EEEvSI_.uses_flat_scratch, 0
	.set _ZN7rocprim17ROCPRIM_400000_NS6detail17trampoline_kernelINS0_14default_configENS1_22reduce_config_selectorIN6thrust23THRUST_200600_302600_NS5tupleIbffNS6_9null_typeES8_S8_S8_S8_S8_S8_EEEEZNS1_11reduce_implILb1ES3_PS9_SC_S9_12reduce_tupleIifEEE10hipError_tPvRmT1_T2_T3_mT4_P12ihipStream_tbEUlT_E0_NS1_11comp_targetILNS1_3genE3ELNS1_11target_archE908ELNS1_3gpuE7ELNS1_3repE0EEENS1_30default_config_static_selectorELNS0_4arch9wavefront6targetE1EEEvSI_.has_dyn_sized_stack, 0
	.set _ZN7rocprim17ROCPRIM_400000_NS6detail17trampoline_kernelINS0_14default_configENS1_22reduce_config_selectorIN6thrust23THRUST_200600_302600_NS5tupleIbffNS6_9null_typeES8_S8_S8_S8_S8_S8_EEEEZNS1_11reduce_implILb1ES3_PS9_SC_S9_12reduce_tupleIifEEE10hipError_tPvRmT1_T2_T3_mT4_P12ihipStream_tbEUlT_E0_NS1_11comp_targetILNS1_3genE3ELNS1_11target_archE908ELNS1_3gpuE7ELNS1_3repE0EEENS1_30default_config_static_selectorELNS0_4arch9wavefront6targetE1EEEvSI_.has_recursion, 0
	.set _ZN7rocprim17ROCPRIM_400000_NS6detail17trampoline_kernelINS0_14default_configENS1_22reduce_config_selectorIN6thrust23THRUST_200600_302600_NS5tupleIbffNS6_9null_typeES8_S8_S8_S8_S8_S8_EEEEZNS1_11reduce_implILb1ES3_PS9_SC_S9_12reduce_tupleIifEEE10hipError_tPvRmT1_T2_T3_mT4_P12ihipStream_tbEUlT_E0_NS1_11comp_targetILNS1_3genE3ELNS1_11target_archE908ELNS1_3gpuE7ELNS1_3repE0EEENS1_30default_config_static_selectorELNS0_4arch9wavefront6targetE1EEEvSI_.has_indirect_call, 0
	.section	.AMDGPU.csdata,"",@progbits
; Kernel info:
; codeLenInByte = 0
; TotalNumSgprs: 4
; NumVgprs: 0
; ScratchSize: 0
; MemoryBound: 0
; FloatMode: 240
; IeeeMode: 1
; LDSByteSize: 0 bytes/workgroup (compile time only)
; SGPRBlocks: 0
; VGPRBlocks: 0
; NumSGPRsForWavesPerEU: 4
; NumVGPRsForWavesPerEU: 1
; Occupancy: 10
; WaveLimiterHint : 0
; COMPUTE_PGM_RSRC2:SCRATCH_EN: 0
; COMPUTE_PGM_RSRC2:USER_SGPR: 6
; COMPUTE_PGM_RSRC2:TRAP_HANDLER: 0
; COMPUTE_PGM_RSRC2:TGID_X_EN: 1
; COMPUTE_PGM_RSRC2:TGID_Y_EN: 0
; COMPUTE_PGM_RSRC2:TGID_Z_EN: 0
; COMPUTE_PGM_RSRC2:TIDIG_COMP_CNT: 0
	.section	.text._ZN7rocprim17ROCPRIM_400000_NS6detail17trampoline_kernelINS0_14default_configENS1_22reduce_config_selectorIN6thrust23THRUST_200600_302600_NS5tupleIbffNS6_9null_typeES8_S8_S8_S8_S8_S8_EEEEZNS1_11reduce_implILb1ES3_PS9_SC_S9_12reduce_tupleIifEEE10hipError_tPvRmT1_T2_T3_mT4_P12ihipStream_tbEUlT_E0_NS1_11comp_targetILNS1_3genE2ELNS1_11target_archE906ELNS1_3gpuE6ELNS1_3repE0EEENS1_30default_config_static_selectorELNS0_4arch9wavefront6targetE1EEEvSI_,"axG",@progbits,_ZN7rocprim17ROCPRIM_400000_NS6detail17trampoline_kernelINS0_14default_configENS1_22reduce_config_selectorIN6thrust23THRUST_200600_302600_NS5tupleIbffNS6_9null_typeES8_S8_S8_S8_S8_S8_EEEEZNS1_11reduce_implILb1ES3_PS9_SC_S9_12reduce_tupleIifEEE10hipError_tPvRmT1_T2_T3_mT4_P12ihipStream_tbEUlT_E0_NS1_11comp_targetILNS1_3genE2ELNS1_11target_archE906ELNS1_3gpuE6ELNS1_3repE0EEENS1_30default_config_static_selectorELNS0_4arch9wavefront6targetE1EEEvSI_,comdat
	.protected	_ZN7rocprim17ROCPRIM_400000_NS6detail17trampoline_kernelINS0_14default_configENS1_22reduce_config_selectorIN6thrust23THRUST_200600_302600_NS5tupleIbffNS6_9null_typeES8_S8_S8_S8_S8_S8_EEEEZNS1_11reduce_implILb1ES3_PS9_SC_S9_12reduce_tupleIifEEE10hipError_tPvRmT1_T2_T3_mT4_P12ihipStream_tbEUlT_E0_NS1_11comp_targetILNS1_3genE2ELNS1_11target_archE906ELNS1_3gpuE6ELNS1_3repE0EEENS1_30default_config_static_selectorELNS0_4arch9wavefront6targetE1EEEvSI_ ; -- Begin function _ZN7rocprim17ROCPRIM_400000_NS6detail17trampoline_kernelINS0_14default_configENS1_22reduce_config_selectorIN6thrust23THRUST_200600_302600_NS5tupleIbffNS6_9null_typeES8_S8_S8_S8_S8_S8_EEEEZNS1_11reduce_implILb1ES3_PS9_SC_S9_12reduce_tupleIifEEE10hipError_tPvRmT1_T2_T3_mT4_P12ihipStream_tbEUlT_E0_NS1_11comp_targetILNS1_3genE2ELNS1_11target_archE906ELNS1_3gpuE6ELNS1_3repE0EEENS1_30default_config_static_selectorELNS0_4arch9wavefront6targetE1EEEvSI_
	.globl	_ZN7rocprim17ROCPRIM_400000_NS6detail17trampoline_kernelINS0_14default_configENS1_22reduce_config_selectorIN6thrust23THRUST_200600_302600_NS5tupleIbffNS6_9null_typeES8_S8_S8_S8_S8_S8_EEEEZNS1_11reduce_implILb1ES3_PS9_SC_S9_12reduce_tupleIifEEE10hipError_tPvRmT1_T2_T3_mT4_P12ihipStream_tbEUlT_E0_NS1_11comp_targetILNS1_3genE2ELNS1_11target_archE906ELNS1_3gpuE6ELNS1_3repE0EEENS1_30default_config_static_selectorELNS0_4arch9wavefront6targetE1EEEvSI_
	.p2align	8
	.type	_ZN7rocprim17ROCPRIM_400000_NS6detail17trampoline_kernelINS0_14default_configENS1_22reduce_config_selectorIN6thrust23THRUST_200600_302600_NS5tupleIbffNS6_9null_typeES8_S8_S8_S8_S8_S8_EEEEZNS1_11reduce_implILb1ES3_PS9_SC_S9_12reduce_tupleIifEEE10hipError_tPvRmT1_T2_T3_mT4_P12ihipStream_tbEUlT_E0_NS1_11comp_targetILNS1_3genE2ELNS1_11target_archE906ELNS1_3gpuE6ELNS1_3repE0EEENS1_30default_config_static_selectorELNS0_4arch9wavefront6targetE1EEEvSI_,@function
_ZN7rocprim17ROCPRIM_400000_NS6detail17trampoline_kernelINS0_14default_configENS1_22reduce_config_selectorIN6thrust23THRUST_200600_302600_NS5tupleIbffNS6_9null_typeES8_S8_S8_S8_S8_S8_EEEEZNS1_11reduce_implILb1ES3_PS9_SC_S9_12reduce_tupleIifEEE10hipError_tPvRmT1_T2_T3_mT4_P12ihipStream_tbEUlT_E0_NS1_11comp_targetILNS1_3genE2ELNS1_11target_archE906ELNS1_3gpuE6ELNS1_3repE0EEENS1_30default_config_static_selectorELNS0_4arch9wavefront6targetE1EEEvSI_: ; @_ZN7rocprim17ROCPRIM_400000_NS6detail17trampoline_kernelINS0_14default_configENS1_22reduce_config_selectorIN6thrust23THRUST_200600_302600_NS5tupleIbffNS6_9null_typeES8_S8_S8_S8_S8_S8_EEEEZNS1_11reduce_implILb1ES3_PS9_SC_S9_12reduce_tupleIifEEE10hipError_tPvRmT1_T2_T3_mT4_P12ihipStream_tbEUlT_E0_NS1_11comp_targetILNS1_3genE2ELNS1_11target_archE906ELNS1_3gpuE6ELNS1_3repE0EEENS1_30default_config_static_selectorELNS0_4arch9wavefront6targetE1EEEvSI_
; %bb.0:
	s_load_dwordx8 s[8:15], s[4:5], 0x0
	s_load_dwordx4 s[16:19], s[4:5], 0x20
	s_mov_b32 s7, 0
	s_waitcnt lgkmcnt(0)
	s_mul_i32 s0, s11, 12
	s_mul_hi_u32 s1, s10, 12
	s_add_i32 s1, s1, s0
	s_mul_i32 s0, s10, 12
	s_add_u32 s2, s8, s0
	s_addc_u32 s3, s9, s1
	s_lshl_b32 s20, s6, 8
	s_lshr_b64 s[0:1], s[12:13], 8
	s_mul_i32 s8, s6, 0xc00
	s_mul_hi_u32 s9, s20, 12
	s_add_u32 s2, s2, s8
	s_addc_u32 s3, s3, s9
	s_cmp_lg_u64 s[0:1], s[6:7]
	s_cbranch_scc0 .LBB5_54
; %bb.1:
	v_mad_u64_u32 v[7:8], s[0:1], v0, 12, s[2:3]
	global_load_ubyte v6, v[7:8], off
	global_load_ubyte v5, v[7:8], off offset:1536
	global_load_dwordx2 v[1:2], v[7:8], off offset:4
	global_load_dwordx2 v[3:4], v[7:8], off offset:1540
	s_waitcnt vmcnt(2)
	v_and_b32_e32 v7, v5, v6
	v_and_b32_e32 v7, 1, v7
	v_cmp_eq_u32_e32 vcc, 1, v7
	s_and_saveexec_b64 s[0:1], vcc
	s_xor_b64 s[0:1], exec, s[0:1]
	s_cbranch_execz .LBB5_3
; %bb.2:
	s_waitcnt vmcnt(0)
	v_cmp_lt_f32_e32 vcc, v3, v1
	v_cndmask_b32_e32 v1, v1, v3, vcc
	v_cmp_lt_f32_e32 vcc, v2, v4
	v_cndmask_b32_e32 v2, v2, v4, vcc
                                        ; implicit-def: $vgpr4
                                        ; implicit-def: $vgpr5
                                        ; implicit-def: $vgpr6
.LBB5_3:
	s_or_saveexec_b64 s[0:1], s[0:1]
	v_mov_b32_e32 v7, 1
	s_xor_b64 exec, exec, s[0:1]
	s_cbranch_execz .LBB5_7
; %bb.4:
	v_and_b32_e32 v6, 1, v6
	v_cmp_eq_u32_e32 vcc, 1, v6
	s_xor_b64 s[10:11], vcc, -1
	v_mov_b32_e32 v7, 1
	s_and_saveexec_b64 s[8:9], s[10:11]
	s_cbranch_execz .LBB5_6
; %bb.5:
	s_waitcnt vmcnt(0)
	v_mov_b32_e32 v2, v4
	v_mov_b32_e32 v1, v3
	v_mov_b32_e32 v7, v5
.LBB5_6:
	s_or_b64 exec, exec, s[8:9]
.LBB5_7:
	s_or_b64 exec, exec, s[0:1]
	v_and_b32_e32 v5, 0xff, v7
	s_waitcnt vmcnt(0)
	v_mov_b32_dpp v3, v1 quad_perm:[1,0,3,2] row_mask:0xf bank_mask:0xf bound_ctrl:1
	v_mov_b32_dpp v4, v2 quad_perm:[1,0,3,2] row_mask:0xf bank_mask:0xf bound_ctrl:1
	;; [unrolled: 1-line block ×3, first 2 shown]
	v_and_b32_e32 v6, 1, v6
	v_cmp_eq_u32_e32 vcc, 1, v6
	v_and_b32_e32 v6, 1, v7
	v_cmp_eq_u32_e64 s[0:1], 1, v6
	s_and_b64 s[0:1], vcc, s[0:1]
	s_xor_b64 s[0:1], s[0:1], -1
                                        ; implicit-def: $vgpr6
	s_and_saveexec_b64 s[8:9], s[0:1]
	s_xor_b64 s[0:1], exec, s[8:9]
	s_cbranch_execz .LBB5_11
; %bb.8:
	s_xor_b64 s[10:11], vcc, -1
	v_mov_b32_e32 v6, 1
	s_and_saveexec_b64 s[8:9], s[10:11]
; %bb.9:
	v_mov_b32_e32 v4, v2
	v_mov_b32_e32 v3, v1
	;; [unrolled: 1-line block ×3, first 2 shown]
; %bb.10:
	s_or_b64 exec, exec, s[8:9]
                                        ; implicit-def: $vgpr1
.LBB5_11:
	s_andn2_saveexec_b64 s[0:1], s[0:1]
; %bb.12:
	v_cmp_lt_f32_e32 vcc, v1, v3
	v_cndmask_b32_e32 v3, v3, v1, vcc
	v_cmp_gt_f32_e32 vcc, v2, v4
	v_cndmask_b32_e32 v4, v4, v2, vcc
	v_mov_b32_e32 v6, 1
; %bb.13:
	s_or_b64 exec, exec, s[0:1]
	s_nop 0
	v_mov_b32_dpp v2, v6 quad_perm:[2,3,0,1] row_mask:0xf bank_mask:0xf bound_ctrl:1
	v_and_b32_e32 v7, 1, v2
	v_and_b32_e32 v2, v2, v6
	;; [unrolled: 1-line block ×3, first 2 shown]
	v_mov_b32_dpp v1, v3 quad_perm:[2,3,0,1] row_mask:0xf bank_mask:0xf bound_ctrl:1
	v_mov_b32_dpp v5, v4 quad_perm:[2,3,0,1] row_mask:0xf bank_mask:0xf bound_ctrl:1
	v_cmp_ne_u32_e32 vcc, 1, v7
	v_cmp_ne_u32_e64 s[0:1], 1, v2
                                        ; implicit-def: $vgpr7
	s_and_saveexec_b64 s[8:9], s[0:1]
	s_xor_b64 s[0:1], exec, s[8:9]
	s_cbranch_execz .LBB5_17
; %bb.14:
	v_mov_b32_e32 v7, 1
	s_and_saveexec_b64 s[8:9], vcc
; %bb.15:
	v_mov_b32_e32 v5, v4
	v_mov_b32_e32 v1, v3
	;; [unrolled: 1-line block ×3, first 2 shown]
; %bb.16:
	s_or_b64 exec, exec, s[8:9]
                                        ; implicit-def: $vgpr3
                                        ; implicit-def: $vgpr4
.LBB5_17:
	s_andn2_saveexec_b64 s[0:1], s[0:1]
; %bb.18:
	v_cmp_lt_f32_e32 vcc, v3, v1
	v_cndmask_b32_e32 v1, v1, v3, vcc
	v_cmp_gt_f32_e32 vcc, v4, v5
	v_cndmask_b32_e32 v5, v5, v4, vcc
	v_mov_b32_e32 v7, 1
; %bb.19:
	s_or_b64 exec, exec, s[0:1]
	s_nop 0
	v_mov_b32_dpp v4, v7 row_ror:4 row_mask:0xf bank_mask:0xf bound_ctrl:1
	v_and_b32_e32 v6, 1, v4
	v_and_b32_e32 v4, v4, v7
	;; [unrolled: 1-line block ×3, first 2 shown]
	v_mov_b32_dpp v2, v1 row_ror:4 row_mask:0xf bank_mask:0xf bound_ctrl:1
	v_mov_b32_dpp v3, v5 row_ror:4 row_mask:0xf bank_mask:0xf bound_ctrl:1
	v_cmp_ne_u32_e32 vcc, 1, v6
	v_cmp_ne_u32_e64 s[0:1], 1, v4
                                        ; implicit-def: $vgpr6
	s_and_saveexec_b64 s[8:9], s[0:1]
	s_xor_b64 s[0:1], exec, s[8:9]
	s_cbranch_execz .LBB5_23
; %bb.20:
	v_mov_b32_e32 v6, 1
	s_and_saveexec_b64 s[8:9], vcc
; %bb.21:
	v_mov_b32_e32 v3, v5
	v_mov_b32_e32 v2, v1
	v_mov_b32_e32 v6, v7
; %bb.22:
	s_or_b64 exec, exec, s[8:9]
                                        ; implicit-def: $vgpr1
                                        ; implicit-def: $vgpr5
.LBB5_23:
	s_andn2_saveexec_b64 s[0:1], s[0:1]
; %bb.24:
	v_cmp_lt_f32_e32 vcc, v1, v2
	v_cndmask_b32_e32 v2, v2, v1, vcc
	v_cmp_gt_f32_e32 vcc, v5, v3
	v_cndmask_b32_e32 v3, v3, v5, vcc
	v_mov_b32_e32 v6, 1
; %bb.25:
	s_or_b64 exec, exec, s[0:1]
	s_nop 0
	v_mov_b32_dpp v5, v6 row_ror:8 row_mask:0xf bank_mask:0xf bound_ctrl:1
	v_and_b32_e32 v7, 1, v5
	v_and_b32_e32 v5, v5, v6
	;; [unrolled: 1-line block ×3, first 2 shown]
	v_mov_b32_dpp v1, v2 row_ror:8 row_mask:0xf bank_mask:0xf bound_ctrl:1
	v_mov_b32_dpp v4, v3 row_ror:8 row_mask:0xf bank_mask:0xf bound_ctrl:1
	v_cmp_ne_u32_e32 vcc, 1, v7
	v_cmp_ne_u32_e64 s[0:1], 1, v5
                                        ; implicit-def: $vgpr5
	s_and_saveexec_b64 s[8:9], s[0:1]
	s_xor_b64 s[0:1], exec, s[8:9]
	s_cbranch_execz .LBB5_29
; %bb.26:
	v_mov_b32_e32 v5, 1
	s_and_saveexec_b64 s[8:9], vcc
; %bb.27:
	v_mov_b32_e32 v4, v3
	v_mov_b32_e32 v1, v2
	;; [unrolled: 1-line block ×3, first 2 shown]
; %bb.28:
	s_or_b64 exec, exec, s[8:9]
                                        ; implicit-def: $vgpr2
                                        ; implicit-def: $vgpr3
.LBB5_29:
	s_andn2_saveexec_b64 s[0:1], s[0:1]
; %bb.30:
	v_cmp_lt_f32_e32 vcc, v2, v1
	v_cndmask_b32_e32 v1, v1, v2, vcc
	v_cmp_gt_f32_e32 vcc, v3, v4
	v_cndmask_b32_e32 v4, v4, v3, vcc
	v_mov_b32_e32 v5, 1
; %bb.31:
	s_or_b64 exec, exec, s[0:1]
	s_nop 0
	v_mov_b32_dpp v6, v5 row_bcast:15 row_mask:0xf bank_mask:0xf bound_ctrl:1
	v_and_b32_e32 v7, 1, v6
	v_and_b32_e32 v6, v6, v5
	;; [unrolled: 1-line block ×3, first 2 shown]
	v_mov_b32_dpp v2, v1 row_bcast:15 row_mask:0xf bank_mask:0xf bound_ctrl:1
	v_mov_b32_dpp v3, v4 row_bcast:15 row_mask:0xf bank_mask:0xf bound_ctrl:1
	v_cmp_ne_u32_e32 vcc, 1, v7
	v_cmp_ne_u32_e64 s[0:1], 1, v6
                                        ; implicit-def: $vgpr6
	s_and_saveexec_b64 s[8:9], s[0:1]
	s_xor_b64 s[0:1], exec, s[8:9]
	s_cbranch_execz .LBB5_35
; %bb.32:
	v_mov_b32_e32 v6, 1
	s_and_saveexec_b64 s[8:9], vcc
; %bb.33:
	v_mov_b32_e32 v3, v4
	v_mov_b32_e32 v2, v1
	;; [unrolled: 1-line block ×3, first 2 shown]
; %bb.34:
	s_or_b64 exec, exec, s[8:9]
                                        ; implicit-def: $vgpr1
                                        ; implicit-def: $vgpr4
.LBB5_35:
	s_andn2_saveexec_b64 s[0:1], s[0:1]
; %bb.36:
	v_cmp_lt_f32_e32 vcc, v1, v2
	v_cndmask_b32_e32 v2, v2, v1, vcc
	v_cmp_gt_f32_e32 vcc, v4, v3
	v_cndmask_b32_e32 v3, v3, v4, vcc
	v_mov_b32_e32 v6, 1
; %bb.37:
	s_or_b64 exec, exec, s[0:1]
	s_nop 0
	v_mov_b32_dpp v5, v6 row_bcast:31 row_mask:0xf bank_mask:0xf bound_ctrl:1
	v_and_b32_e32 v7, 1, v5
	v_and_b32_e32 v5, v5, v6
	;; [unrolled: 1-line block ×3, first 2 shown]
	v_mov_b32_dpp v1, v2 row_bcast:31 row_mask:0xf bank_mask:0xf bound_ctrl:1
	v_mov_b32_dpp v4, v3 row_bcast:31 row_mask:0xf bank_mask:0xf bound_ctrl:1
	v_cmp_ne_u32_e32 vcc, 1, v7
	v_cmp_ne_u32_e64 s[0:1], 1, v5
                                        ; implicit-def: $vgpr5
	s_and_saveexec_b64 s[8:9], s[0:1]
	s_xor_b64 s[0:1], exec, s[8:9]
	s_cbranch_execz .LBB5_41
; %bb.38:
	v_mov_b32_e32 v5, 1
	s_and_saveexec_b64 s[8:9], vcc
; %bb.39:
	v_mov_b32_e32 v4, v3
	v_mov_b32_e32 v1, v2
	v_mov_b32_e32 v5, v6
; %bb.40:
	s_or_b64 exec, exec, s[8:9]
                                        ; implicit-def: $vgpr2
                                        ; implicit-def: $vgpr3
.LBB5_41:
	s_andn2_saveexec_b64 s[0:1], s[0:1]
; %bb.42:
	v_cmp_lt_f32_e32 vcc, v2, v1
	v_cndmask_b32_e32 v1, v1, v2, vcc
	v_cmp_gt_f32_e32 vcc, v3, v4
	v_cndmask_b32_e32 v4, v4, v3, vcc
	v_mov_b32_e32 v5, 1
; %bb.43:
	s_or_b64 exec, exec, s[0:1]
	v_mbcnt_lo_u32_b32 v2, -1, 0
	v_mbcnt_hi_u32_b32 v3, -1, v2
	v_lshlrev_b32_e32 v6, 2, v3
	v_or_b32_e32 v2, 0xfc, v6
	ds_bpermute_b32 v5, v2, v5
	ds_bpermute_b32 v1, v2, v1
	;; [unrolled: 1-line block ×3, first 2 shown]
	v_cmp_eq_u32_e32 vcc, 0, v3
	s_and_saveexec_b64 s[0:1], vcc
	s_cbranch_execz .LBB5_45
; %bb.44:
	v_lshrrev_b32_e32 v4, 6, v0
	v_mul_u32_u24_e32 v4, 12, v4
	s_waitcnt lgkmcnt(2)
	ds_write_b8 v4, v5 offset:32
	s_waitcnt lgkmcnt(1)
	ds_write2_b32 v4, v1, v2 offset0:9 offset1:10
.LBB5_45:
	s_or_b64 exec, exec, s[0:1]
	v_cmp_gt_u32_e32 vcc, 64, v0
	s_waitcnt lgkmcnt(0)
	s_barrier
	s_and_saveexec_b64 s[0:1], vcc
	s_cbranch_execz .LBB5_53
; %bb.46:
	v_and_b32_e32 v1, 1, v3
	v_mul_u32_u24_e32 v1, 12, v1
	ds_read_u8 v7, v1 offset:32
	ds_read2_b32 v[3:4], v1 offset0:9 offset1:10
	v_or_b32_e32 v2, 4, v6
	s_waitcnt lgkmcnt(1)
	v_and_b32_e32 v1, 0xff, v7
	ds_bpermute_b32 v6, v2, v1
	s_waitcnt lgkmcnt(1)
	ds_bpermute_b32 v1, v2, v3
	ds_bpermute_b32 v2, v2, v4
	s_waitcnt lgkmcnt(2)
	v_and_b32_e32 v5, v7, v6
	v_and_b32_e32 v5, 1, v5
	v_cmp_eq_u32_e32 vcc, 1, v5
	s_and_saveexec_b64 s[8:9], vcc
	s_xor_b64 s[8:9], exec, s[8:9]
	s_cbranch_execz .LBB5_48
; %bb.47:
	s_waitcnt lgkmcnt(1)
	v_cmp_gt_f32_e32 vcc, v3, v1
	v_cndmask_b32_e32 v1, v3, v1, vcc
	s_waitcnt lgkmcnt(0)
	v_cmp_lt_f32_e32 vcc, v4, v2
	v_cndmask_b32_e32 v2, v4, v2, vcc
                                        ; implicit-def: $vgpr4
                                        ; implicit-def: $vgpr6
                                        ; implicit-def: $vgpr7
.LBB5_48:
	s_or_saveexec_b64 s[8:9], s[8:9]
	v_mov_b32_e32 v5, 1
	s_xor_b64 exec, exec, s[8:9]
	s_cbranch_execz .LBB5_52
; %bb.49:
	v_and_b32_e32 v5, 1, v7
	v_cmp_eq_u32_e32 vcc, 1, v5
	s_and_saveexec_b64 s[10:11], vcc
	s_cbranch_execz .LBB5_51
; %bb.50:
	v_mov_b32_e32 v6, 1
	s_waitcnt lgkmcnt(0)
	v_mov_b32_e32 v2, v4
	v_mov_b32_e32 v1, v3
.LBB5_51:
	s_or_b64 exec, exec, s[10:11]
	v_mov_b32_e32 v5, v6
.LBB5_52:
	s_or_b64 exec, exec, s[8:9]
.LBB5_53:
	s_or_b64 exec, exec, s[0:1]
	s_load_dword s7, s[4:5], 0x30
	s_load_dwordx2 s[0:1], s[4:5], 0x34
	s_branch .LBB5_128
.LBB5_54:
                                        ; implicit-def: $vgpr2
                                        ; implicit-def: $vgpr5
	s_load_dword s7, s[4:5], 0x30
	s_load_dwordx2 s[0:1], s[4:5], 0x34
	s_cbranch_execz .LBB5_128
; %bb.55:
	s_sub_i32 s10, s12, s20
	v_cmp_gt_u32_e32 vcc, s10, v0
	v_mov_b32_e32 v7, 0
	v_mov_b32_e32 v3, 0
	s_waitcnt lgkmcnt(0)
	v_mov_b32_e32 v2, 0
	v_mov_b32_e32 v1, 0
	s_and_saveexec_b64 s[4:5], vcc
	s_cbranch_execz .LBB5_57
; %bb.56:
	v_mad_u64_u32 v[4:5], s[8:9], v0, 12, s[2:3]
	global_load_ubyte v7, v[4:5], off
	global_load_dwordx2 v[1:2], v[4:5], off offset:4
.LBB5_57:
	s_or_b64 exec, exec, s[4:5]
	v_or_b32_e32 v4, 0x80, v0
	v_cmp_gt_u32_e32 vcc, s10, v4
	v_mov_b32_e32 v5, 0
	v_mov_b32_e32 v4, 0
	s_and_saveexec_b64 s[4:5], vcc
	s_cbranch_execz .LBB5_59
; %bb.58:
	v_mad_u64_u32 v[8:9], s[2:3], v0, 12, s[2:3]
	global_load_ubyte v5, v[8:9], off offset:1536
	global_load_dwordx2 v[3:4], v[8:9], off offset:1540
.LBB5_59:
	s_or_b64 exec, exec, s[4:5]
	s_and_saveexec_b64 s[2:3], vcc
	s_cbranch_execz .LBB5_67
; %bb.60:
	s_waitcnt vmcnt(1)
	v_and_b32_e32 v6, v5, v7
	v_mov_b32_e32 v8, 0
	v_cmp_ne_u16_sdwa s[4:5], v6, v8 src0_sel:BYTE_0 src1_sel:DWORD
	s_and_saveexec_b64 s[8:9], s[4:5]
	s_xor_b64 s[4:5], exec, s[8:9]
	s_cbranch_execz .LBB5_62
; %bb.61:
	s_waitcnt vmcnt(0)
	v_cmp_lt_f32_e32 vcc, v3, v1
	v_cndmask_b32_e32 v1, v1, v3, vcc
	v_cmp_lt_f32_e32 vcc, v2, v4
	v_cndmask_b32_e32 v2, v2, v4, vcc
                                        ; implicit-def: $vgpr4
                                        ; implicit-def: $vgpr5
                                        ; implicit-def: $vgpr7
.LBB5_62:
	s_or_saveexec_b64 s[4:5], s[4:5]
	v_mov_b32_e32 v6, 1
	s_xor_b64 exec, exec, s[4:5]
	s_cbranch_execz .LBB5_66
; %bb.63:
	v_and_b32_e32 v6, 1, v7
	v_cmp_eq_u32_e32 vcc, 1, v6
	s_xor_b64 s[20:21], vcc, -1
	v_mov_b32_e32 v6, 1
	s_and_saveexec_b64 s[8:9], s[20:21]
	s_cbranch_execz .LBB5_65
; %bb.64:
	s_waitcnt vmcnt(0)
	v_mov_b32_e32 v2, v4
	v_mov_b32_e32 v1, v3
	;; [unrolled: 1-line block ×3, first 2 shown]
.LBB5_65:
	s_or_b64 exec, exec, s[8:9]
.LBB5_66:
	s_or_b64 exec, exec, s[4:5]
	v_mov_b32_e32 v7, v6
.LBB5_67:
	s_or_b64 exec, exec, s[2:3]
	s_waitcnt vmcnt(0)
	v_mbcnt_lo_u32_b32 v3, -1, 0
	v_mbcnt_hi_u32_b32 v3, -1, v3
	v_and_b32_e32 v4, 63, v3
	v_cmp_ne_u32_e32 vcc, 63, v4
	v_addc_co_u32_e32 v6, vcc, 0, v3, vcc
	v_and_b32_e32 v5, 0xff, v7
	v_lshlrev_b32_e32 v6, 2, v6
	ds_bpermute_b32 v10, v6, v5
	ds_bpermute_b32 v8, v6, v1
	ds_bpermute_b32 v9, v6, v2
	s_min_u32 s10, s10, 0x80
	v_and_b32_e32 v6, 64, v0
	v_sub_u32_e64 v6, s10, v6 clamp
	v_add_u32_e32 v11, 1, v4
	v_cmp_lt_u32_e32 vcc, v11, v6
	s_and_saveexec_b64 s[2:3], vcc
	s_xor_b64 s[2:3], exec, s[2:3]
	s_cbranch_execz .LBB5_75
; %bb.68:
	s_waitcnt lgkmcnt(2)
	v_and_b32_e32 v5, v10, v5
	v_cmp_ne_u32_e32 vcc, 0, v5
	s_and_saveexec_b64 s[4:5], vcc
	s_xor_b64 s[4:5], exec, s[4:5]
	s_cbranch_execz .LBB5_70
; %bb.69:
	s_waitcnt lgkmcnt(1)
	v_cmp_gt_f32_e32 vcc, v1, v8
	v_cndmask_b32_e32 v8, v1, v8, vcc
	s_waitcnt lgkmcnt(0)
	v_cmp_lt_f32_e32 vcc, v2, v9
	v_cndmask_b32_e32 v9, v2, v9, vcc
                                        ; implicit-def: $vgpr2
                                        ; implicit-def: $vgpr10
                                        ; implicit-def: $vgpr7
.LBB5_70:
	s_or_saveexec_b64 s[4:5], s[4:5]
	v_mov_b32_e32 v5, 1
	s_xor_b64 exec, exec, s[4:5]
	s_cbranch_execz .LBB5_74
; %bb.71:
	v_and_b32_e32 v5, 1, v7
	v_cmp_eq_u32_e32 vcc, 1, v5
	s_and_saveexec_b64 s[8:9], vcc
	s_cbranch_execz .LBB5_73
; %bb.72:
	v_mov_b32_e32 v10, 1
	s_waitcnt lgkmcnt(0)
	v_mov_b32_e32 v9, v2
	v_mov_b32_e32 v8, v1
.LBB5_73:
	s_or_b64 exec, exec, s[8:9]
	v_mov_b32_e32 v5, v10
.LBB5_74:
	s_or_b64 exec, exec, s[4:5]
	v_and_b32_e32 v5, 0xff, v5
	s_waitcnt lgkmcnt(1)
	v_mov_b32_e32 v1, v8
	s_waitcnt lgkmcnt(0)
	v_mov_b32_e32 v2, v9
.LBB5_75:
	s_or_b64 exec, exec, s[2:3]
	v_cmp_gt_u32_e32 vcc, 62, v4
	v_cndmask_b32_e64 v7, 0, 2, vcc
	v_add_lshl_u32 v7, v7, v3, 2
	s_waitcnt lgkmcnt(0)
	ds_bpermute_b32 v9, v7, v5
	ds_bpermute_b32 v8, v7, v1
	ds_bpermute_b32 v7, v7, v2
	v_add_u32_e32 v10, 2, v4
	v_cmp_lt_u32_e32 vcc, v10, v6
	s_and_saveexec_b64 s[2:3], vcc
	s_cbranch_execz .LBB5_83
; %bb.76:
	s_waitcnt lgkmcnt(2)
	v_and_b32_e32 v10, v5, v9
	v_and_b32_e32 v10, 1, v10
	v_cmp_eq_u32_e32 vcc, 1, v10
	s_and_saveexec_b64 s[4:5], vcc
	s_xor_b64 s[4:5], exec, s[4:5]
	s_cbranch_execz .LBB5_78
; %bb.77:
	s_waitcnt lgkmcnt(1)
	v_cmp_gt_f32_e32 vcc, v1, v8
	v_cndmask_b32_e32 v8, v1, v8, vcc
	s_waitcnt lgkmcnt(0)
	v_cmp_lt_f32_e32 vcc, v2, v7
	v_cndmask_b32_e32 v7, v2, v7, vcc
                                        ; implicit-def: $vgpr2
                                        ; implicit-def: $vgpr9
                                        ; implicit-def: $vgpr5
.LBB5_78:
	s_or_saveexec_b64 s[4:5], s[4:5]
	v_mov_b32_e32 v10, 1
	s_xor_b64 exec, exec, s[4:5]
	s_cbranch_execz .LBB5_82
; %bb.79:
	v_and_b32_e32 v5, 1, v5
	v_cmp_eq_u32_e32 vcc, 1, v5
	s_and_saveexec_b64 s[8:9], vcc
	s_cbranch_execz .LBB5_81
; %bb.80:
	v_mov_b32_e32 v9, 1
	s_waitcnt lgkmcnt(0)
	v_mov_b32_e32 v7, v2
	v_mov_b32_e32 v8, v1
.LBB5_81:
	s_or_b64 exec, exec, s[8:9]
	v_mov_b32_e32 v10, v9
.LBB5_82:
	s_or_b64 exec, exec, s[4:5]
	v_and_b32_e32 v5, 0xff, v10
	s_waitcnt lgkmcnt(1)
	v_mov_b32_e32 v1, v8
	s_waitcnt lgkmcnt(0)
	v_mov_b32_e32 v2, v7
.LBB5_83:
	s_or_b64 exec, exec, s[2:3]
	v_cmp_gt_u32_e32 vcc, 60, v4
	s_waitcnt lgkmcnt(0)
	v_cndmask_b32_e64 v7, 0, 4, vcc
	v_add_lshl_u32 v7, v7, v3, 2
	ds_bpermute_b32 v9, v7, v5
	ds_bpermute_b32 v8, v7, v1
	ds_bpermute_b32 v7, v7, v2
	v_add_u32_e32 v10, 4, v4
	v_cmp_lt_u32_e32 vcc, v10, v6
	s_and_saveexec_b64 s[2:3], vcc
	s_cbranch_execz .LBB5_91
; %bb.84:
	s_waitcnt lgkmcnt(2)
	v_and_b32_e32 v10, v5, v9
	v_and_b32_e32 v10, 1, v10
	v_cmp_eq_u32_e32 vcc, 1, v10
	s_and_saveexec_b64 s[4:5], vcc
	s_xor_b64 s[4:5], exec, s[4:5]
	s_cbranch_execz .LBB5_86
; %bb.85:
	s_waitcnt lgkmcnt(1)
	v_cmp_gt_f32_e32 vcc, v1, v8
	v_cndmask_b32_e32 v8, v1, v8, vcc
	s_waitcnt lgkmcnt(0)
	v_cmp_lt_f32_e32 vcc, v2, v7
	v_cndmask_b32_e32 v7, v2, v7, vcc
                                        ; implicit-def: $vgpr2
                                        ; implicit-def: $vgpr9
                                        ; implicit-def: $vgpr5
.LBB5_86:
	s_or_saveexec_b64 s[4:5], s[4:5]
	v_mov_b32_e32 v10, 1
	s_xor_b64 exec, exec, s[4:5]
	s_cbranch_execz .LBB5_90
; %bb.87:
	v_and_b32_e32 v5, 1, v5
	v_cmp_eq_u32_e32 vcc, 1, v5
	s_and_saveexec_b64 s[8:9], vcc
	s_cbranch_execz .LBB5_89
; %bb.88:
	v_mov_b32_e32 v9, 1
	s_waitcnt lgkmcnt(0)
	v_mov_b32_e32 v7, v2
	v_mov_b32_e32 v8, v1
.LBB5_89:
	s_or_b64 exec, exec, s[8:9]
	v_mov_b32_e32 v10, v9
.LBB5_90:
	s_or_b64 exec, exec, s[4:5]
	v_and_b32_e32 v5, 0xff, v10
	s_waitcnt lgkmcnt(1)
	v_mov_b32_e32 v1, v8
	s_waitcnt lgkmcnt(0)
	v_mov_b32_e32 v2, v7
.LBB5_91:
	s_or_b64 exec, exec, s[2:3]
	v_cmp_gt_u32_e32 vcc, 56, v4
	s_waitcnt lgkmcnt(0)
	v_cndmask_b32_e64 v7, 0, 8, vcc
	v_add_lshl_u32 v7, v7, v3, 2
	;; [unrolled: 56-line block ×3, first 2 shown]
	ds_bpermute_b32 v9, v7, v5
	ds_bpermute_b32 v8, v7, v1
	;; [unrolled: 1-line block ×3, first 2 shown]
	v_add_u32_e32 v10, 16, v4
	v_cmp_lt_u32_e32 vcc, v10, v6
	s_and_saveexec_b64 s[2:3], vcc
	s_cbranch_execz .LBB5_107
; %bb.100:
	s_waitcnt lgkmcnt(2)
	v_and_b32_e32 v10, v5, v9
	v_and_b32_e32 v10, 1, v10
	v_cmp_eq_u32_e32 vcc, 1, v10
	s_and_saveexec_b64 s[4:5], vcc
	s_xor_b64 s[4:5], exec, s[4:5]
	s_cbranch_execz .LBB5_102
; %bb.101:
	s_waitcnt lgkmcnt(1)
	v_cmp_gt_f32_e32 vcc, v1, v8
	v_cndmask_b32_e32 v8, v1, v8, vcc
	s_waitcnt lgkmcnt(0)
	v_cmp_lt_f32_e32 vcc, v2, v7
	v_cndmask_b32_e32 v7, v2, v7, vcc
                                        ; implicit-def: $vgpr2
                                        ; implicit-def: $vgpr9
                                        ; implicit-def: $vgpr5
.LBB5_102:
	s_or_saveexec_b64 s[4:5], s[4:5]
	v_mov_b32_e32 v10, 1
	s_xor_b64 exec, exec, s[4:5]
	s_cbranch_execz .LBB5_106
; %bb.103:
	v_and_b32_e32 v5, 1, v5
	v_cmp_eq_u32_e32 vcc, 1, v5
	s_and_saveexec_b64 s[8:9], vcc
	s_cbranch_execz .LBB5_105
; %bb.104:
	v_mov_b32_e32 v9, 1
	s_waitcnt lgkmcnt(0)
	v_mov_b32_e32 v7, v2
	v_mov_b32_e32 v8, v1
.LBB5_105:
	s_or_b64 exec, exec, s[8:9]
	v_mov_b32_e32 v10, v9
.LBB5_106:
	s_or_b64 exec, exec, s[4:5]
	v_and_b32_e32 v5, 0xff, v10
	s_waitcnt lgkmcnt(1)
	v_mov_b32_e32 v1, v8
	s_waitcnt lgkmcnt(0)
	v_mov_b32_e32 v2, v7
.LBB5_107:
	s_or_b64 exec, exec, s[2:3]
	s_waitcnt lgkmcnt(0)
	v_lshlrev_b32_e32 v7, 2, v3
	v_or_b32_e32 v9, 0x80, v7
	ds_bpermute_b32 v10, v9, v5
	ds_bpermute_b32 v8, v9, v1
	;; [unrolled: 1-line block ×3, first 2 shown]
	v_add_u32_e32 v4, 32, v4
	v_cmp_lt_u32_e32 vcc, v4, v6
	v_mov_b32_e32 v4, v5
	s_and_saveexec_b64 s[2:3], vcc
	s_cbranch_execz .LBB5_115
; %bb.108:
	s_waitcnt lgkmcnt(2)
	v_and_b32_e32 v4, v5, v10
	v_and_b32_e32 v4, 1, v4
	v_cmp_eq_u32_e32 vcc, 1, v4
	s_and_saveexec_b64 s[4:5], vcc
	s_xor_b64 s[4:5], exec, s[4:5]
	s_cbranch_execz .LBB5_110
; %bb.109:
	s_waitcnt lgkmcnt(1)
	v_cmp_gt_f32_e32 vcc, v1, v8
	v_cndmask_b32_e32 v8, v1, v8, vcc
	s_waitcnt lgkmcnt(0)
	v_cmp_lt_f32_e32 vcc, v2, v9
	v_cndmask_b32_e32 v9, v2, v9, vcc
                                        ; implicit-def: $vgpr2
                                        ; implicit-def: $vgpr10
                                        ; implicit-def: $vgpr5
.LBB5_110:
	s_or_saveexec_b64 s[4:5], s[4:5]
	v_mov_b32_e32 v4, 1
	s_xor_b64 exec, exec, s[4:5]
	s_cbranch_execz .LBB5_114
; %bb.111:
	v_and_b32_e32 v4, 1, v5
	v_cmp_eq_u32_e32 vcc, 1, v4
	s_and_saveexec_b64 s[8:9], vcc
	s_cbranch_execz .LBB5_113
; %bb.112:
	v_mov_b32_e32 v10, 1
	s_waitcnt lgkmcnt(0)
	v_mov_b32_e32 v9, v2
	v_mov_b32_e32 v8, v1
.LBB5_113:
	s_or_b64 exec, exec, s[8:9]
	v_mov_b32_e32 v4, v10
.LBB5_114:
	s_or_b64 exec, exec, s[4:5]
	v_and_b32_e32 v5, 0xff, v4
	s_waitcnt lgkmcnt(0)
	v_mov_b32_e32 v2, v9
	v_mov_b32_e32 v1, v8
.LBB5_115:
	s_or_b64 exec, exec, s[2:3]
	v_cmp_eq_u32_e32 vcc, 0, v3
	s_and_saveexec_b64 s[2:3], vcc
	s_cbranch_execz .LBB5_117
; %bb.116:
	v_lshrrev_b32_e32 v6, 6, v0
	v_mul_u32_u24_e32 v6, 12, v6
	ds_write_b8 v6, v4
	ds_write2_b32 v6, v1, v2 offset0:1 offset1:2
.LBB5_117:
	s_or_b64 exec, exec, s[2:3]
	v_cmp_gt_u32_e32 vcc, 2, v0
	s_waitcnt lgkmcnt(0)
	s_barrier
	s_and_saveexec_b64 s[2:3], vcc
	s_cbranch_execz .LBB5_127
; %bb.118:
	v_mul_u32_u24_e32 v1, 12, v3
	ds_read_u8 v8, v1
	ds_read2_b32 v[1:2], v1 offset0:1 offset1:2
	v_or_b32_e32 v6, 4, v7
	s_add_i32 s10, s10, 63
	v_and_b32_e32 v3, 1, v3
	s_waitcnt lgkmcnt(1)
	v_and_b32_e32 v5, 0xff, v8
	s_waitcnt lgkmcnt(0)
	ds_bpermute_b32 v4, v6, v1
	ds_bpermute_b32 v7, v6, v5
	;; [unrolled: 1-line block ×3, first 2 shown]
	s_lshr_b32 s4, s10, 6
	v_add_u32_e32 v3, 1, v3
	v_cmp_gt_u32_e32 vcc, s4, v3
	s_and_saveexec_b64 s[4:5], vcc
	s_cbranch_execz .LBB5_126
; %bb.119:
	s_waitcnt lgkmcnt(1)
	v_and_b32_e32 v3, v5, v7
	v_and_b32_e32 v3, 1, v3
	v_cmp_eq_u32_e32 vcc, 1, v3
	s_and_saveexec_b64 s[8:9], vcc
	s_xor_b64 s[8:9], exec, s[8:9]
	s_cbranch_execz .LBB5_121
; %bb.120:
	v_cmp_gt_f32_e32 vcc, v1, v4
	v_cndmask_b32_e32 v4, v1, v4, vcc
	s_waitcnt lgkmcnt(0)
	v_cmp_lt_f32_e32 vcc, v2, v6
	v_cndmask_b32_e32 v6, v2, v6, vcc
                                        ; implicit-def: $vgpr2
                                        ; implicit-def: $vgpr7
                                        ; implicit-def: $vgpr8
.LBB5_121:
	s_or_saveexec_b64 s[8:9], s[8:9]
	v_mov_b32_e32 v5, 1
	s_xor_b64 exec, exec, s[8:9]
	s_cbranch_execz .LBB5_125
; %bb.122:
	v_and_b32_e32 v3, 1, v8
	v_cmp_eq_u32_e32 vcc, 1, v3
	s_and_saveexec_b64 s[10:11], vcc
	s_cbranch_execz .LBB5_124
; %bb.123:
	v_mov_b32_e32 v7, 1
	s_waitcnt lgkmcnt(0)
	v_mov_b32_e32 v6, v2
	v_mov_b32_e32 v4, v1
.LBB5_124:
	s_or_b64 exec, exec, s[10:11]
	v_mov_b32_e32 v5, v7
.LBB5_125:
	s_or_b64 exec, exec, s[8:9]
	s_waitcnt lgkmcnt(0)
	v_mov_b32_e32 v2, v6
	v_mov_b32_e32 v1, v4
.LBB5_126:
	s_or_b64 exec, exec, s[4:5]
.LBB5_127:
	s_or_b64 exec, exec, s[2:3]
.LBB5_128:
	v_cmp_eq_u32_e32 vcc, 0, v0
	s_and_saveexec_b64 s[2:3], vcc
	s_cbranch_execnz .LBB5_130
; %bb.129:
	s_endpgm
.LBB5_130:
	s_mul_i32 s2, s18, s17
	s_mul_hi_u32 s3, s18, s16
	s_add_i32 s2, s3, s2
	s_mul_i32 s3, s19, s16
	s_add_i32 s2, s2, s3
	s_mul_i32 s3, s18, s16
	s_mul_i32 s2, s2, 12
	s_mul_hi_u32 s4, s3, 12
	s_add_i32 s4, s4, s2
	s_mul_i32 s3, s3, 12
	s_add_u32 s2, s14, s3
	s_addc_u32 s3, s15, s4
	s_cmp_eq_u64 s[12:13], 0
	s_waitcnt lgkmcnt(0)
	v_mov_b32_e32 v0, s1
	s_cselect_b64 vcc, -1, 0
	v_cndmask_b32_e32 v2, v2, v0, vcc
	v_mov_b32_e32 v0, s0
	s_mul_i32 s0, s6, 12
	v_cndmask_b32_e32 v1, v1, v0, vcc
	v_mov_b32_e32 v0, s7
	s_mul_hi_u32 s1, s6, 12
	s_add_u32 s0, s2, s0
	v_cndmask_b32_e32 v0, v5, v0, vcc
	s_addc_u32 s1, s3, s1
	v_mov_b32_e32 v3, 0
	global_store_byte v3, v0, s[0:1]
	global_store_dwordx2 v3, v[1:2], s[0:1] offset:4
	s_endpgm
	.section	.rodata,"a",@progbits
	.p2align	6, 0x0
	.amdhsa_kernel _ZN7rocprim17ROCPRIM_400000_NS6detail17trampoline_kernelINS0_14default_configENS1_22reduce_config_selectorIN6thrust23THRUST_200600_302600_NS5tupleIbffNS6_9null_typeES8_S8_S8_S8_S8_S8_EEEEZNS1_11reduce_implILb1ES3_PS9_SC_S9_12reduce_tupleIifEEE10hipError_tPvRmT1_T2_T3_mT4_P12ihipStream_tbEUlT_E0_NS1_11comp_targetILNS1_3genE2ELNS1_11target_archE906ELNS1_3gpuE6ELNS1_3repE0EEENS1_30default_config_static_selectorELNS0_4arch9wavefront6targetE1EEEvSI_
		.amdhsa_group_segment_fixed_size 56
		.amdhsa_private_segment_fixed_size 0
		.amdhsa_kernarg_size 64
		.amdhsa_user_sgpr_count 6
		.amdhsa_user_sgpr_private_segment_buffer 1
		.amdhsa_user_sgpr_dispatch_ptr 0
		.amdhsa_user_sgpr_queue_ptr 0
		.amdhsa_user_sgpr_kernarg_segment_ptr 1
		.amdhsa_user_sgpr_dispatch_id 0
		.amdhsa_user_sgpr_flat_scratch_init 0
		.amdhsa_user_sgpr_private_segment_size 0
		.amdhsa_uses_dynamic_stack 0
		.amdhsa_system_sgpr_private_segment_wavefront_offset 0
		.amdhsa_system_sgpr_workgroup_id_x 1
		.amdhsa_system_sgpr_workgroup_id_y 0
		.amdhsa_system_sgpr_workgroup_id_z 0
		.amdhsa_system_sgpr_workgroup_info 0
		.amdhsa_system_vgpr_workitem_id 0
		.amdhsa_next_free_vgpr 12
		.amdhsa_next_free_sgpr 22
		.amdhsa_reserve_vcc 1
		.amdhsa_reserve_flat_scratch 0
		.amdhsa_float_round_mode_32 0
		.amdhsa_float_round_mode_16_64 0
		.amdhsa_float_denorm_mode_32 3
		.amdhsa_float_denorm_mode_16_64 3
		.amdhsa_dx10_clamp 1
		.amdhsa_ieee_mode 1
		.amdhsa_fp16_overflow 0
		.amdhsa_exception_fp_ieee_invalid_op 0
		.amdhsa_exception_fp_denorm_src 0
		.amdhsa_exception_fp_ieee_div_zero 0
		.amdhsa_exception_fp_ieee_overflow 0
		.amdhsa_exception_fp_ieee_underflow 0
		.amdhsa_exception_fp_ieee_inexact 0
		.amdhsa_exception_int_div_zero 0
	.end_amdhsa_kernel
	.section	.text._ZN7rocprim17ROCPRIM_400000_NS6detail17trampoline_kernelINS0_14default_configENS1_22reduce_config_selectorIN6thrust23THRUST_200600_302600_NS5tupleIbffNS6_9null_typeES8_S8_S8_S8_S8_S8_EEEEZNS1_11reduce_implILb1ES3_PS9_SC_S9_12reduce_tupleIifEEE10hipError_tPvRmT1_T2_T3_mT4_P12ihipStream_tbEUlT_E0_NS1_11comp_targetILNS1_3genE2ELNS1_11target_archE906ELNS1_3gpuE6ELNS1_3repE0EEENS1_30default_config_static_selectorELNS0_4arch9wavefront6targetE1EEEvSI_,"axG",@progbits,_ZN7rocprim17ROCPRIM_400000_NS6detail17trampoline_kernelINS0_14default_configENS1_22reduce_config_selectorIN6thrust23THRUST_200600_302600_NS5tupleIbffNS6_9null_typeES8_S8_S8_S8_S8_S8_EEEEZNS1_11reduce_implILb1ES3_PS9_SC_S9_12reduce_tupleIifEEE10hipError_tPvRmT1_T2_T3_mT4_P12ihipStream_tbEUlT_E0_NS1_11comp_targetILNS1_3genE2ELNS1_11target_archE906ELNS1_3gpuE6ELNS1_3repE0EEENS1_30default_config_static_selectorELNS0_4arch9wavefront6targetE1EEEvSI_,comdat
.Lfunc_end5:
	.size	_ZN7rocprim17ROCPRIM_400000_NS6detail17trampoline_kernelINS0_14default_configENS1_22reduce_config_selectorIN6thrust23THRUST_200600_302600_NS5tupleIbffNS6_9null_typeES8_S8_S8_S8_S8_S8_EEEEZNS1_11reduce_implILb1ES3_PS9_SC_S9_12reduce_tupleIifEEE10hipError_tPvRmT1_T2_T3_mT4_P12ihipStream_tbEUlT_E0_NS1_11comp_targetILNS1_3genE2ELNS1_11target_archE906ELNS1_3gpuE6ELNS1_3repE0EEENS1_30default_config_static_selectorELNS0_4arch9wavefront6targetE1EEEvSI_, .Lfunc_end5-_ZN7rocprim17ROCPRIM_400000_NS6detail17trampoline_kernelINS0_14default_configENS1_22reduce_config_selectorIN6thrust23THRUST_200600_302600_NS5tupleIbffNS6_9null_typeES8_S8_S8_S8_S8_S8_EEEEZNS1_11reduce_implILb1ES3_PS9_SC_S9_12reduce_tupleIifEEE10hipError_tPvRmT1_T2_T3_mT4_P12ihipStream_tbEUlT_E0_NS1_11comp_targetILNS1_3genE2ELNS1_11target_archE906ELNS1_3gpuE6ELNS1_3repE0EEENS1_30default_config_static_selectorELNS0_4arch9wavefront6targetE1EEEvSI_
                                        ; -- End function
	.set _ZN7rocprim17ROCPRIM_400000_NS6detail17trampoline_kernelINS0_14default_configENS1_22reduce_config_selectorIN6thrust23THRUST_200600_302600_NS5tupleIbffNS6_9null_typeES8_S8_S8_S8_S8_S8_EEEEZNS1_11reduce_implILb1ES3_PS9_SC_S9_12reduce_tupleIifEEE10hipError_tPvRmT1_T2_T3_mT4_P12ihipStream_tbEUlT_E0_NS1_11comp_targetILNS1_3genE2ELNS1_11target_archE906ELNS1_3gpuE6ELNS1_3repE0EEENS1_30default_config_static_selectorELNS0_4arch9wavefront6targetE1EEEvSI_.num_vgpr, 12
	.set _ZN7rocprim17ROCPRIM_400000_NS6detail17trampoline_kernelINS0_14default_configENS1_22reduce_config_selectorIN6thrust23THRUST_200600_302600_NS5tupleIbffNS6_9null_typeES8_S8_S8_S8_S8_S8_EEEEZNS1_11reduce_implILb1ES3_PS9_SC_S9_12reduce_tupleIifEEE10hipError_tPvRmT1_T2_T3_mT4_P12ihipStream_tbEUlT_E0_NS1_11comp_targetILNS1_3genE2ELNS1_11target_archE906ELNS1_3gpuE6ELNS1_3repE0EEENS1_30default_config_static_selectorELNS0_4arch9wavefront6targetE1EEEvSI_.num_agpr, 0
	.set _ZN7rocprim17ROCPRIM_400000_NS6detail17trampoline_kernelINS0_14default_configENS1_22reduce_config_selectorIN6thrust23THRUST_200600_302600_NS5tupleIbffNS6_9null_typeES8_S8_S8_S8_S8_S8_EEEEZNS1_11reduce_implILb1ES3_PS9_SC_S9_12reduce_tupleIifEEE10hipError_tPvRmT1_T2_T3_mT4_P12ihipStream_tbEUlT_E0_NS1_11comp_targetILNS1_3genE2ELNS1_11target_archE906ELNS1_3gpuE6ELNS1_3repE0EEENS1_30default_config_static_selectorELNS0_4arch9wavefront6targetE1EEEvSI_.numbered_sgpr, 22
	.set _ZN7rocprim17ROCPRIM_400000_NS6detail17trampoline_kernelINS0_14default_configENS1_22reduce_config_selectorIN6thrust23THRUST_200600_302600_NS5tupleIbffNS6_9null_typeES8_S8_S8_S8_S8_S8_EEEEZNS1_11reduce_implILb1ES3_PS9_SC_S9_12reduce_tupleIifEEE10hipError_tPvRmT1_T2_T3_mT4_P12ihipStream_tbEUlT_E0_NS1_11comp_targetILNS1_3genE2ELNS1_11target_archE906ELNS1_3gpuE6ELNS1_3repE0EEENS1_30default_config_static_selectorELNS0_4arch9wavefront6targetE1EEEvSI_.num_named_barrier, 0
	.set _ZN7rocprim17ROCPRIM_400000_NS6detail17trampoline_kernelINS0_14default_configENS1_22reduce_config_selectorIN6thrust23THRUST_200600_302600_NS5tupleIbffNS6_9null_typeES8_S8_S8_S8_S8_S8_EEEEZNS1_11reduce_implILb1ES3_PS9_SC_S9_12reduce_tupleIifEEE10hipError_tPvRmT1_T2_T3_mT4_P12ihipStream_tbEUlT_E0_NS1_11comp_targetILNS1_3genE2ELNS1_11target_archE906ELNS1_3gpuE6ELNS1_3repE0EEENS1_30default_config_static_selectorELNS0_4arch9wavefront6targetE1EEEvSI_.private_seg_size, 0
	.set _ZN7rocprim17ROCPRIM_400000_NS6detail17trampoline_kernelINS0_14default_configENS1_22reduce_config_selectorIN6thrust23THRUST_200600_302600_NS5tupleIbffNS6_9null_typeES8_S8_S8_S8_S8_S8_EEEEZNS1_11reduce_implILb1ES3_PS9_SC_S9_12reduce_tupleIifEEE10hipError_tPvRmT1_T2_T3_mT4_P12ihipStream_tbEUlT_E0_NS1_11comp_targetILNS1_3genE2ELNS1_11target_archE906ELNS1_3gpuE6ELNS1_3repE0EEENS1_30default_config_static_selectorELNS0_4arch9wavefront6targetE1EEEvSI_.uses_vcc, 1
	.set _ZN7rocprim17ROCPRIM_400000_NS6detail17trampoline_kernelINS0_14default_configENS1_22reduce_config_selectorIN6thrust23THRUST_200600_302600_NS5tupleIbffNS6_9null_typeES8_S8_S8_S8_S8_S8_EEEEZNS1_11reduce_implILb1ES3_PS9_SC_S9_12reduce_tupleIifEEE10hipError_tPvRmT1_T2_T3_mT4_P12ihipStream_tbEUlT_E0_NS1_11comp_targetILNS1_3genE2ELNS1_11target_archE906ELNS1_3gpuE6ELNS1_3repE0EEENS1_30default_config_static_selectorELNS0_4arch9wavefront6targetE1EEEvSI_.uses_flat_scratch, 0
	.set _ZN7rocprim17ROCPRIM_400000_NS6detail17trampoline_kernelINS0_14default_configENS1_22reduce_config_selectorIN6thrust23THRUST_200600_302600_NS5tupleIbffNS6_9null_typeES8_S8_S8_S8_S8_S8_EEEEZNS1_11reduce_implILb1ES3_PS9_SC_S9_12reduce_tupleIifEEE10hipError_tPvRmT1_T2_T3_mT4_P12ihipStream_tbEUlT_E0_NS1_11comp_targetILNS1_3genE2ELNS1_11target_archE906ELNS1_3gpuE6ELNS1_3repE0EEENS1_30default_config_static_selectorELNS0_4arch9wavefront6targetE1EEEvSI_.has_dyn_sized_stack, 0
	.set _ZN7rocprim17ROCPRIM_400000_NS6detail17trampoline_kernelINS0_14default_configENS1_22reduce_config_selectorIN6thrust23THRUST_200600_302600_NS5tupleIbffNS6_9null_typeES8_S8_S8_S8_S8_S8_EEEEZNS1_11reduce_implILb1ES3_PS9_SC_S9_12reduce_tupleIifEEE10hipError_tPvRmT1_T2_T3_mT4_P12ihipStream_tbEUlT_E0_NS1_11comp_targetILNS1_3genE2ELNS1_11target_archE906ELNS1_3gpuE6ELNS1_3repE0EEENS1_30default_config_static_selectorELNS0_4arch9wavefront6targetE1EEEvSI_.has_recursion, 0
	.set _ZN7rocprim17ROCPRIM_400000_NS6detail17trampoline_kernelINS0_14default_configENS1_22reduce_config_selectorIN6thrust23THRUST_200600_302600_NS5tupleIbffNS6_9null_typeES8_S8_S8_S8_S8_S8_EEEEZNS1_11reduce_implILb1ES3_PS9_SC_S9_12reduce_tupleIifEEE10hipError_tPvRmT1_T2_T3_mT4_P12ihipStream_tbEUlT_E0_NS1_11comp_targetILNS1_3genE2ELNS1_11target_archE906ELNS1_3gpuE6ELNS1_3repE0EEENS1_30default_config_static_selectorELNS0_4arch9wavefront6targetE1EEEvSI_.has_indirect_call, 0
	.section	.AMDGPU.csdata,"",@progbits
; Kernel info:
; codeLenInByte = 3220
; TotalNumSgprs: 26
; NumVgprs: 12
; ScratchSize: 0
; MemoryBound: 0
; FloatMode: 240
; IeeeMode: 1
; LDSByteSize: 56 bytes/workgroup (compile time only)
; SGPRBlocks: 3
; VGPRBlocks: 2
; NumSGPRsForWavesPerEU: 26
; NumVGPRsForWavesPerEU: 12
; Occupancy: 10
; WaveLimiterHint : 1
; COMPUTE_PGM_RSRC2:SCRATCH_EN: 0
; COMPUTE_PGM_RSRC2:USER_SGPR: 6
; COMPUTE_PGM_RSRC2:TRAP_HANDLER: 0
; COMPUTE_PGM_RSRC2:TGID_X_EN: 1
; COMPUTE_PGM_RSRC2:TGID_Y_EN: 0
; COMPUTE_PGM_RSRC2:TGID_Z_EN: 0
; COMPUTE_PGM_RSRC2:TIDIG_COMP_CNT: 0
	.section	.text._ZN7rocprim17ROCPRIM_400000_NS6detail17trampoline_kernelINS0_14default_configENS1_22reduce_config_selectorIN6thrust23THRUST_200600_302600_NS5tupleIbffNS6_9null_typeES8_S8_S8_S8_S8_S8_EEEEZNS1_11reduce_implILb1ES3_PS9_SC_S9_12reduce_tupleIifEEE10hipError_tPvRmT1_T2_T3_mT4_P12ihipStream_tbEUlT_E0_NS1_11comp_targetILNS1_3genE10ELNS1_11target_archE1201ELNS1_3gpuE5ELNS1_3repE0EEENS1_30default_config_static_selectorELNS0_4arch9wavefront6targetE1EEEvSI_,"axG",@progbits,_ZN7rocprim17ROCPRIM_400000_NS6detail17trampoline_kernelINS0_14default_configENS1_22reduce_config_selectorIN6thrust23THRUST_200600_302600_NS5tupleIbffNS6_9null_typeES8_S8_S8_S8_S8_S8_EEEEZNS1_11reduce_implILb1ES3_PS9_SC_S9_12reduce_tupleIifEEE10hipError_tPvRmT1_T2_T3_mT4_P12ihipStream_tbEUlT_E0_NS1_11comp_targetILNS1_3genE10ELNS1_11target_archE1201ELNS1_3gpuE5ELNS1_3repE0EEENS1_30default_config_static_selectorELNS0_4arch9wavefront6targetE1EEEvSI_,comdat
	.protected	_ZN7rocprim17ROCPRIM_400000_NS6detail17trampoline_kernelINS0_14default_configENS1_22reduce_config_selectorIN6thrust23THRUST_200600_302600_NS5tupleIbffNS6_9null_typeES8_S8_S8_S8_S8_S8_EEEEZNS1_11reduce_implILb1ES3_PS9_SC_S9_12reduce_tupleIifEEE10hipError_tPvRmT1_T2_T3_mT4_P12ihipStream_tbEUlT_E0_NS1_11comp_targetILNS1_3genE10ELNS1_11target_archE1201ELNS1_3gpuE5ELNS1_3repE0EEENS1_30default_config_static_selectorELNS0_4arch9wavefront6targetE1EEEvSI_ ; -- Begin function _ZN7rocprim17ROCPRIM_400000_NS6detail17trampoline_kernelINS0_14default_configENS1_22reduce_config_selectorIN6thrust23THRUST_200600_302600_NS5tupleIbffNS6_9null_typeES8_S8_S8_S8_S8_S8_EEEEZNS1_11reduce_implILb1ES3_PS9_SC_S9_12reduce_tupleIifEEE10hipError_tPvRmT1_T2_T3_mT4_P12ihipStream_tbEUlT_E0_NS1_11comp_targetILNS1_3genE10ELNS1_11target_archE1201ELNS1_3gpuE5ELNS1_3repE0EEENS1_30default_config_static_selectorELNS0_4arch9wavefront6targetE1EEEvSI_
	.globl	_ZN7rocprim17ROCPRIM_400000_NS6detail17trampoline_kernelINS0_14default_configENS1_22reduce_config_selectorIN6thrust23THRUST_200600_302600_NS5tupleIbffNS6_9null_typeES8_S8_S8_S8_S8_S8_EEEEZNS1_11reduce_implILb1ES3_PS9_SC_S9_12reduce_tupleIifEEE10hipError_tPvRmT1_T2_T3_mT4_P12ihipStream_tbEUlT_E0_NS1_11comp_targetILNS1_3genE10ELNS1_11target_archE1201ELNS1_3gpuE5ELNS1_3repE0EEENS1_30default_config_static_selectorELNS0_4arch9wavefront6targetE1EEEvSI_
	.p2align	8
	.type	_ZN7rocprim17ROCPRIM_400000_NS6detail17trampoline_kernelINS0_14default_configENS1_22reduce_config_selectorIN6thrust23THRUST_200600_302600_NS5tupleIbffNS6_9null_typeES8_S8_S8_S8_S8_S8_EEEEZNS1_11reduce_implILb1ES3_PS9_SC_S9_12reduce_tupleIifEEE10hipError_tPvRmT1_T2_T3_mT4_P12ihipStream_tbEUlT_E0_NS1_11comp_targetILNS1_3genE10ELNS1_11target_archE1201ELNS1_3gpuE5ELNS1_3repE0EEENS1_30default_config_static_selectorELNS0_4arch9wavefront6targetE1EEEvSI_,@function
_ZN7rocprim17ROCPRIM_400000_NS6detail17trampoline_kernelINS0_14default_configENS1_22reduce_config_selectorIN6thrust23THRUST_200600_302600_NS5tupleIbffNS6_9null_typeES8_S8_S8_S8_S8_S8_EEEEZNS1_11reduce_implILb1ES3_PS9_SC_S9_12reduce_tupleIifEEE10hipError_tPvRmT1_T2_T3_mT4_P12ihipStream_tbEUlT_E0_NS1_11comp_targetILNS1_3genE10ELNS1_11target_archE1201ELNS1_3gpuE5ELNS1_3repE0EEENS1_30default_config_static_selectorELNS0_4arch9wavefront6targetE1EEEvSI_: ; @_ZN7rocprim17ROCPRIM_400000_NS6detail17trampoline_kernelINS0_14default_configENS1_22reduce_config_selectorIN6thrust23THRUST_200600_302600_NS5tupleIbffNS6_9null_typeES8_S8_S8_S8_S8_S8_EEEEZNS1_11reduce_implILb1ES3_PS9_SC_S9_12reduce_tupleIifEEE10hipError_tPvRmT1_T2_T3_mT4_P12ihipStream_tbEUlT_E0_NS1_11comp_targetILNS1_3genE10ELNS1_11target_archE1201ELNS1_3gpuE5ELNS1_3repE0EEENS1_30default_config_static_selectorELNS0_4arch9wavefront6targetE1EEEvSI_
; %bb.0:
	.section	.rodata,"a",@progbits
	.p2align	6, 0x0
	.amdhsa_kernel _ZN7rocprim17ROCPRIM_400000_NS6detail17trampoline_kernelINS0_14default_configENS1_22reduce_config_selectorIN6thrust23THRUST_200600_302600_NS5tupleIbffNS6_9null_typeES8_S8_S8_S8_S8_S8_EEEEZNS1_11reduce_implILb1ES3_PS9_SC_S9_12reduce_tupleIifEEE10hipError_tPvRmT1_T2_T3_mT4_P12ihipStream_tbEUlT_E0_NS1_11comp_targetILNS1_3genE10ELNS1_11target_archE1201ELNS1_3gpuE5ELNS1_3repE0EEENS1_30default_config_static_selectorELNS0_4arch9wavefront6targetE1EEEvSI_
		.amdhsa_group_segment_fixed_size 0
		.amdhsa_private_segment_fixed_size 0
		.amdhsa_kernarg_size 64
		.amdhsa_user_sgpr_count 6
		.amdhsa_user_sgpr_private_segment_buffer 1
		.amdhsa_user_sgpr_dispatch_ptr 0
		.amdhsa_user_sgpr_queue_ptr 0
		.amdhsa_user_sgpr_kernarg_segment_ptr 1
		.amdhsa_user_sgpr_dispatch_id 0
		.amdhsa_user_sgpr_flat_scratch_init 0
		.amdhsa_user_sgpr_private_segment_size 0
		.amdhsa_uses_dynamic_stack 0
		.amdhsa_system_sgpr_private_segment_wavefront_offset 0
		.amdhsa_system_sgpr_workgroup_id_x 1
		.amdhsa_system_sgpr_workgroup_id_y 0
		.amdhsa_system_sgpr_workgroup_id_z 0
		.amdhsa_system_sgpr_workgroup_info 0
		.amdhsa_system_vgpr_workitem_id 0
		.amdhsa_next_free_vgpr 1
		.amdhsa_next_free_sgpr 0
		.amdhsa_reserve_vcc 0
		.amdhsa_reserve_flat_scratch 0
		.amdhsa_float_round_mode_32 0
		.amdhsa_float_round_mode_16_64 0
		.amdhsa_float_denorm_mode_32 3
		.amdhsa_float_denorm_mode_16_64 3
		.amdhsa_dx10_clamp 1
		.amdhsa_ieee_mode 1
		.amdhsa_fp16_overflow 0
		.amdhsa_exception_fp_ieee_invalid_op 0
		.amdhsa_exception_fp_denorm_src 0
		.amdhsa_exception_fp_ieee_div_zero 0
		.amdhsa_exception_fp_ieee_overflow 0
		.amdhsa_exception_fp_ieee_underflow 0
		.amdhsa_exception_fp_ieee_inexact 0
		.amdhsa_exception_int_div_zero 0
	.end_amdhsa_kernel
	.section	.text._ZN7rocprim17ROCPRIM_400000_NS6detail17trampoline_kernelINS0_14default_configENS1_22reduce_config_selectorIN6thrust23THRUST_200600_302600_NS5tupleIbffNS6_9null_typeES8_S8_S8_S8_S8_S8_EEEEZNS1_11reduce_implILb1ES3_PS9_SC_S9_12reduce_tupleIifEEE10hipError_tPvRmT1_T2_T3_mT4_P12ihipStream_tbEUlT_E0_NS1_11comp_targetILNS1_3genE10ELNS1_11target_archE1201ELNS1_3gpuE5ELNS1_3repE0EEENS1_30default_config_static_selectorELNS0_4arch9wavefront6targetE1EEEvSI_,"axG",@progbits,_ZN7rocprim17ROCPRIM_400000_NS6detail17trampoline_kernelINS0_14default_configENS1_22reduce_config_selectorIN6thrust23THRUST_200600_302600_NS5tupleIbffNS6_9null_typeES8_S8_S8_S8_S8_S8_EEEEZNS1_11reduce_implILb1ES3_PS9_SC_S9_12reduce_tupleIifEEE10hipError_tPvRmT1_T2_T3_mT4_P12ihipStream_tbEUlT_E0_NS1_11comp_targetILNS1_3genE10ELNS1_11target_archE1201ELNS1_3gpuE5ELNS1_3repE0EEENS1_30default_config_static_selectorELNS0_4arch9wavefront6targetE1EEEvSI_,comdat
.Lfunc_end6:
	.size	_ZN7rocprim17ROCPRIM_400000_NS6detail17trampoline_kernelINS0_14default_configENS1_22reduce_config_selectorIN6thrust23THRUST_200600_302600_NS5tupleIbffNS6_9null_typeES8_S8_S8_S8_S8_S8_EEEEZNS1_11reduce_implILb1ES3_PS9_SC_S9_12reduce_tupleIifEEE10hipError_tPvRmT1_T2_T3_mT4_P12ihipStream_tbEUlT_E0_NS1_11comp_targetILNS1_3genE10ELNS1_11target_archE1201ELNS1_3gpuE5ELNS1_3repE0EEENS1_30default_config_static_selectorELNS0_4arch9wavefront6targetE1EEEvSI_, .Lfunc_end6-_ZN7rocprim17ROCPRIM_400000_NS6detail17trampoline_kernelINS0_14default_configENS1_22reduce_config_selectorIN6thrust23THRUST_200600_302600_NS5tupleIbffNS6_9null_typeES8_S8_S8_S8_S8_S8_EEEEZNS1_11reduce_implILb1ES3_PS9_SC_S9_12reduce_tupleIifEEE10hipError_tPvRmT1_T2_T3_mT4_P12ihipStream_tbEUlT_E0_NS1_11comp_targetILNS1_3genE10ELNS1_11target_archE1201ELNS1_3gpuE5ELNS1_3repE0EEENS1_30default_config_static_selectorELNS0_4arch9wavefront6targetE1EEEvSI_
                                        ; -- End function
	.set _ZN7rocprim17ROCPRIM_400000_NS6detail17trampoline_kernelINS0_14default_configENS1_22reduce_config_selectorIN6thrust23THRUST_200600_302600_NS5tupleIbffNS6_9null_typeES8_S8_S8_S8_S8_S8_EEEEZNS1_11reduce_implILb1ES3_PS9_SC_S9_12reduce_tupleIifEEE10hipError_tPvRmT1_T2_T3_mT4_P12ihipStream_tbEUlT_E0_NS1_11comp_targetILNS1_3genE10ELNS1_11target_archE1201ELNS1_3gpuE5ELNS1_3repE0EEENS1_30default_config_static_selectorELNS0_4arch9wavefront6targetE1EEEvSI_.num_vgpr, 0
	.set _ZN7rocprim17ROCPRIM_400000_NS6detail17trampoline_kernelINS0_14default_configENS1_22reduce_config_selectorIN6thrust23THRUST_200600_302600_NS5tupleIbffNS6_9null_typeES8_S8_S8_S8_S8_S8_EEEEZNS1_11reduce_implILb1ES3_PS9_SC_S9_12reduce_tupleIifEEE10hipError_tPvRmT1_T2_T3_mT4_P12ihipStream_tbEUlT_E0_NS1_11comp_targetILNS1_3genE10ELNS1_11target_archE1201ELNS1_3gpuE5ELNS1_3repE0EEENS1_30default_config_static_selectorELNS0_4arch9wavefront6targetE1EEEvSI_.num_agpr, 0
	.set _ZN7rocprim17ROCPRIM_400000_NS6detail17trampoline_kernelINS0_14default_configENS1_22reduce_config_selectorIN6thrust23THRUST_200600_302600_NS5tupleIbffNS6_9null_typeES8_S8_S8_S8_S8_S8_EEEEZNS1_11reduce_implILb1ES3_PS9_SC_S9_12reduce_tupleIifEEE10hipError_tPvRmT1_T2_T3_mT4_P12ihipStream_tbEUlT_E0_NS1_11comp_targetILNS1_3genE10ELNS1_11target_archE1201ELNS1_3gpuE5ELNS1_3repE0EEENS1_30default_config_static_selectorELNS0_4arch9wavefront6targetE1EEEvSI_.numbered_sgpr, 0
	.set _ZN7rocprim17ROCPRIM_400000_NS6detail17trampoline_kernelINS0_14default_configENS1_22reduce_config_selectorIN6thrust23THRUST_200600_302600_NS5tupleIbffNS6_9null_typeES8_S8_S8_S8_S8_S8_EEEEZNS1_11reduce_implILb1ES3_PS9_SC_S9_12reduce_tupleIifEEE10hipError_tPvRmT1_T2_T3_mT4_P12ihipStream_tbEUlT_E0_NS1_11comp_targetILNS1_3genE10ELNS1_11target_archE1201ELNS1_3gpuE5ELNS1_3repE0EEENS1_30default_config_static_selectorELNS0_4arch9wavefront6targetE1EEEvSI_.num_named_barrier, 0
	.set _ZN7rocprim17ROCPRIM_400000_NS6detail17trampoline_kernelINS0_14default_configENS1_22reduce_config_selectorIN6thrust23THRUST_200600_302600_NS5tupleIbffNS6_9null_typeES8_S8_S8_S8_S8_S8_EEEEZNS1_11reduce_implILb1ES3_PS9_SC_S9_12reduce_tupleIifEEE10hipError_tPvRmT1_T2_T3_mT4_P12ihipStream_tbEUlT_E0_NS1_11comp_targetILNS1_3genE10ELNS1_11target_archE1201ELNS1_3gpuE5ELNS1_3repE0EEENS1_30default_config_static_selectorELNS0_4arch9wavefront6targetE1EEEvSI_.private_seg_size, 0
	.set _ZN7rocprim17ROCPRIM_400000_NS6detail17trampoline_kernelINS0_14default_configENS1_22reduce_config_selectorIN6thrust23THRUST_200600_302600_NS5tupleIbffNS6_9null_typeES8_S8_S8_S8_S8_S8_EEEEZNS1_11reduce_implILb1ES3_PS9_SC_S9_12reduce_tupleIifEEE10hipError_tPvRmT1_T2_T3_mT4_P12ihipStream_tbEUlT_E0_NS1_11comp_targetILNS1_3genE10ELNS1_11target_archE1201ELNS1_3gpuE5ELNS1_3repE0EEENS1_30default_config_static_selectorELNS0_4arch9wavefront6targetE1EEEvSI_.uses_vcc, 0
	.set _ZN7rocprim17ROCPRIM_400000_NS6detail17trampoline_kernelINS0_14default_configENS1_22reduce_config_selectorIN6thrust23THRUST_200600_302600_NS5tupleIbffNS6_9null_typeES8_S8_S8_S8_S8_S8_EEEEZNS1_11reduce_implILb1ES3_PS9_SC_S9_12reduce_tupleIifEEE10hipError_tPvRmT1_T2_T3_mT4_P12ihipStream_tbEUlT_E0_NS1_11comp_targetILNS1_3genE10ELNS1_11target_archE1201ELNS1_3gpuE5ELNS1_3repE0EEENS1_30default_config_static_selectorELNS0_4arch9wavefront6targetE1EEEvSI_.uses_flat_scratch, 0
	.set _ZN7rocprim17ROCPRIM_400000_NS6detail17trampoline_kernelINS0_14default_configENS1_22reduce_config_selectorIN6thrust23THRUST_200600_302600_NS5tupleIbffNS6_9null_typeES8_S8_S8_S8_S8_S8_EEEEZNS1_11reduce_implILb1ES3_PS9_SC_S9_12reduce_tupleIifEEE10hipError_tPvRmT1_T2_T3_mT4_P12ihipStream_tbEUlT_E0_NS1_11comp_targetILNS1_3genE10ELNS1_11target_archE1201ELNS1_3gpuE5ELNS1_3repE0EEENS1_30default_config_static_selectorELNS0_4arch9wavefront6targetE1EEEvSI_.has_dyn_sized_stack, 0
	.set _ZN7rocprim17ROCPRIM_400000_NS6detail17trampoline_kernelINS0_14default_configENS1_22reduce_config_selectorIN6thrust23THRUST_200600_302600_NS5tupleIbffNS6_9null_typeES8_S8_S8_S8_S8_S8_EEEEZNS1_11reduce_implILb1ES3_PS9_SC_S9_12reduce_tupleIifEEE10hipError_tPvRmT1_T2_T3_mT4_P12ihipStream_tbEUlT_E0_NS1_11comp_targetILNS1_3genE10ELNS1_11target_archE1201ELNS1_3gpuE5ELNS1_3repE0EEENS1_30default_config_static_selectorELNS0_4arch9wavefront6targetE1EEEvSI_.has_recursion, 0
	.set _ZN7rocprim17ROCPRIM_400000_NS6detail17trampoline_kernelINS0_14default_configENS1_22reduce_config_selectorIN6thrust23THRUST_200600_302600_NS5tupleIbffNS6_9null_typeES8_S8_S8_S8_S8_S8_EEEEZNS1_11reduce_implILb1ES3_PS9_SC_S9_12reduce_tupleIifEEE10hipError_tPvRmT1_T2_T3_mT4_P12ihipStream_tbEUlT_E0_NS1_11comp_targetILNS1_3genE10ELNS1_11target_archE1201ELNS1_3gpuE5ELNS1_3repE0EEENS1_30default_config_static_selectorELNS0_4arch9wavefront6targetE1EEEvSI_.has_indirect_call, 0
	.section	.AMDGPU.csdata,"",@progbits
; Kernel info:
; codeLenInByte = 0
; TotalNumSgprs: 4
; NumVgprs: 0
; ScratchSize: 0
; MemoryBound: 0
; FloatMode: 240
; IeeeMode: 1
; LDSByteSize: 0 bytes/workgroup (compile time only)
; SGPRBlocks: 0
; VGPRBlocks: 0
; NumSGPRsForWavesPerEU: 4
; NumVGPRsForWavesPerEU: 1
; Occupancy: 10
; WaveLimiterHint : 0
; COMPUTE_PGM_RSRC2:SCRATCH_EN: 0
; COMPUTE_PGM_RSRC2:USER_SGPR: 6
; COMPUTE_PGM_RSRC2:TRAP_HANDLER: 0
; COMPUTE_PGM_RSRC2:TGID_X_EN: 1
; COMPUTE_PGM_RSRC2:TGID_Y_EN: 0
; COMPUTE_PGM_RSRC2:TGID_Z_EN: 0
; COMPUTE_PGM_RSRC2:TIDIG_COMP_CNT: 0
	.section	.text._ZN7rocprim17ROCPRIM_400000_NS6detail17trampoline_kernelINS0_14default_configENS1_22reduce_config_selectorIN6thrust23THRUST_200600_302600_NS5tupleIbffNS6_9null_typeES8_S8_S8_S8_S8_S8_EEEEZNS1_11reduce_implILb1ES3_PS9_SC_S9_12reduce_tupleIifEEE10hipError_tPvRmT1_T2_T3_mT4_P12ihipStream_tbEUlT_E0_NS1_11comp_targetILNS1_3genE10ELNS1_11target_archE1200ELNS1_3gpuE4ELNS1_3repE0EEENS1_30default_config_static_selectorELNS0_4arch9wavefront6targetE1EEEvSI_,"axG",@progbits,_ZN7rocprim17ROCPRIM_400000_NS6detail17trampoline_kernelINS0_14default_configENS1_22reduce_config_selectorIN6thrust23THRUST_200600_302600_NS5tupleIbffNS6_9null_typeES8_S8_S8_S8_S8_S8_EEEEZNS1_11reduce_implILb1ES3_PS9_SC_S9_12reduce_tupleIifEEE10hipError_tPvRmT1_T2_T3_mT4_P12ihipStream_tbEUlT_E0_NS1_11comp_targetILNS1_3genE10ELNS1_11target_archE1200ELNS1_3gpuE4ELNS1_3repE0EEENS1_30default_config_static_selectorELNS0_4arch9wavefront6targetE1EEEvSI_,comdat
	.protected	_ZN7rocprim17ROCPRIM_400000_NS6detail17trampoline_kernelINS0_14default_configENS1_22reduce_config_selectorIN6thrust23THRUST_200600_302600_NS5tupleIbffNS6_9null_typeES8_S8_S8_S8_S8_S8_EEEEZNS1_11reduce_implILb1ES3_PS9_SC_S9_12reduce_tupleIifEEE10hipError_tPvRmT1_T2_T3_mT4_P12ihipStream_tbEUlT_E0_NS1_11comp_targetILNS1_3genE10ELNS1_11target_archE1200ELNS1_3gpuE4ELNS1_3repE0EEENS1_30default_config_static_selectorELNS0_4arch9wavefront6targetE1EEEvSI_ ; -- Begin function _ZN7rocprim17ROCPRIM_400000_NS6detail17trampoline_kernelINS0_14default_configENS1_22reduce_config_selectorIN6thrust23THRUST_200600_302600_NS5tupleIbffNS6_9null_typeES8_S8_S8_S8_S8_S8_EEEEZNS1_11reduce_implILb1ES3_PS9_SC_S9_12reduce_tupleIifEEE10hipError_tPvRmT1_T2_T3_mT4_P12ihipStream_tbEUlT_E0_NS1_11comp_targetILNS1_3genE10ELNS1_11target_archE1200ELNS1_3gpuE4ELNS1_3repE0EEENS1_30default_config_static_selectorELNS0_4arch9wavefront6targetE1EEEvSI_
	.globl	_ZN7rocprim17ROCPRIM_400000_NS6detail17trampoline_kernelINS0_14default_configENS1_22reduce_config_selectorIN6thrust23THRUST_200600_302600_NS5tupleIbffNS6_9null_typeES8_S8_S8_S8_S8_S8_EEEEZNS1_11reduce_implILb1ES3_PS9_SC_S9_12reduce_tupleIifEEE10hipError_tPvRmT1_T2_T3_mT4_P12ihipStream_tbEUlT_E0_NS1_11comp_targetILNS1_3genE10ELNS1_11target_archE1200ELNS1_3gpuE4ELNS1_3repE0EEENS1_30default_config_static_selectorELNS0_4arch9wavefront6targetE1EEEvSI_
	.p2align	8
	.type	_ZN7rocprim17ROCPRIM_400000_NS6detail17trampoline_kernelINS0_14default_configENS1_22reduce_config_selectorIN6thrust23THRUST_200600_302600_NS5tupleIbffNS6_9null_typeES8_S8_S8_S8_S8_S8_EEEEZNS1_11reduce_implILb1ES3_PS9_SC_S9_12reduce_tupleIifEEE10hipError_tPvRmT1_T2_T3_mT4_P12ihipStream_tbEUlT_E0_NS1_11comp_targetILNS1_3genE10ELNS1_11target_archE1200ELNS1_3gpuE4ELNS1_3repE0EEENS1_30default_config_static_selectorELNS0_4arch9wavefront6targetE1EEEvSI_,@function
_ZN7rocprim17ROCPRIM_400000_NS6detail17trampoline_kernelINS0_14default_configENS1_22reduce_config_selectorIN6thrust23THRUST_200600_302600_NS5tupleIbffNS6_9null_typeES8_S8_S8_S8_S8_S8_EEEEZNS1_11reduce_implILb1ES3_PS9_SC_S9_12reduce_tupleIifEEE10hipError_tPvRmT1_T2_T3_mT4_P12ihipStream_tbEUlT_E0_NS1_11comp_targetILNS1_3genE10ELNS1_11target_archE1200ELNS1_3gpuE4ELNS1_3repE0EEENS1_30default_config_static_selectorELNS0_4arch9wavefront6targetE1EEEvSI_: ; @_ZN7rocprim17ROCPRIM_400000_NS6detail17trampoline_kernelINS0_14default_configENS1_22reduce_config_selectorIN6thrust23THRUST_200600_302600_NS5tupleIbffNS6_9null_typeES8_S8_S8_S8_S8_S8_EEEEZNS1_11reduce_implILb1ES3_PS9_SC_S9_12reduce_tupleIifEEE10hipError_tPvRmT1_T2_T3_mT4_P12ihipStream_tbEUlT_E0_NS1_11comp_targetILNS1_3genE10ELNS1_11target_archE1200ELNS1_3gpuE4ELNS1_3repE0EEENS1_30default_config_static_selectorELNS0_4arch9wavefront6targetE1EEEvSI_
; %bb.0:
	.section	.rodata,"a",@progbits
	.p2align	6, 0x0
	.amdhsa_kernel _ZN7rocprim17ROCPRIM_400000_NS6detail17trampoline_kernelINS0_14default_configENS1_22reduce_config_selectorIN6thrust23THRUST_200600_302600_NS5tupleIbffNS6_9null_typeES8_S8_S8_S8_S8_S8_EEEEZNS1_11reduce_implILb1ES3_PS9_SC_S9_12reduce_tupleIifEEE10hipError_tPvRmT1_T2_T3_mT4_P12ihipStream_tbEUlT_E0_NS1_11comp_targetILNS1_3genE10ELNS1_11target_archE1200ELNS1_3gpuE4ELNS1_3repE0EEENS1_30default_config_static_selectorELNS0_4arch9wavefront6targetE1EEEvSI_
		.amdhsa_group_segment_fixed_size 0
		.amdhsa_private_segment_fixed_size 0
		.amdhsa_kernarg_size 64
		.amdhsa_user_sgpr_count 6
		.amdhsa_user_sgpr_private_segment_buffer 1
		.amdhsa_user_sgpr_dispatch_ptr 0
		.amdhsa_user_sgpr_queue_ptr 0
		.amdhsa_user_sgpr_kernarg_segment_ptr 1
		.amdhsa_user_sgpr_dispatch_id 0
		.amdhsa_user_sgpr_flat_scratch_init 0
		.amdhsa_user_sgpr_private_segment_size 0
		.amdhsa_uses_dynamic_stack 0
		.amdhsa_system_sgpr_private_segment_wavefront_offset 0
		.amdhsa_system_sgpr_workgroup_id_x 1
		.amdhsa_system_sgpr_workgroup_id_y 0
		.amdhsa_system_sgpr_workgroup_id_z 0
		.amdhsa_system_sgpr_workgroup_info 0
		.amdhsa_system_vgpr_workitem_id 0
		.amdhsa_next_free_vgpr 1
		.amdhsa_next_free_sgpr 0
		.amdhsa_reserve_vcc 0
		.amdhsa_reserve_flat_scratch 0
		.amdhsa_float_round_mode_32 0
		.amdhsa_float_round_mode_16_64 0
		.amdhsa_float_denorm_mode_32 3
		.amdhsa_float_denorm_mode_16_64 3
		.amdhsa_dx10_clamp 1
		.amdhsa_ieee_mode 1
		.amdhsa_fp16_overflow 0
		.amdhsa_exception_fp_ieee_invalid_op 0
		.amdhsa_exception_fp_denorm_src 0
		.amdhsa_exception_fp_ieee_div_zero 0
		.amdhsa_exception_fp_ieee_overflow 0
		.amdhsa_exception_fp_ieee_underflow 0
		.amdhsa_exception_fp_ieee_inexact 0
		.amdhsa_exception_int_div_zero 0
	.end_amdhsa_kernel
	.section	.text._ZN7rocprim17ROCPRIM_400000_NS6detail17trampoline_kernelINS0_14default_configENS1_22reduce_config_selectorIN6thrust23THRUST_200600_302600_NS5tupleIbffNS6_9null_typeES8_S8_S8_S8_S8_S8_EEEEZNS1_11reduce_implILb1ES3_PS9_SC_S9_12reduce_tupleIifEEE10hipError_tPvRmT1_T2_T3_mT4_P12ihipStream_tbEUlT_E0_NS1_11comp_targetILNS1_3genE10ELNS1_11target_archE1200ELNS1_3gpuE4ELNS1_3repE0EEENS1_30default_config_static_selectorELNS0_4arch9wavefront6targetE1EEEvSI_,"axG",@progbits,_ZN7rocprim17ROCPRIM_400000_NS6detail17trampoline_kernelINS0_14default_configENS1_22reduce_config_selectorIN6thrust23THRUST_200600_302600_NS5tupleIbffNS6_9null_typeES8_S8_S8_S8_S8_S8_EEEEZNS1_11reduce_implILb1ES3_PS9_SC_S9_12reduce_tupleIifEEE10hipError_tPvRmT1_T2_T3_mT4_P12ihipStream_tbEUlT_E0_NS1_11comp_targetILNS1_3genE10ELNS1_11target_archE1200ELNS1_3gpuE4ELNS1_3repE0EEENS1_30default_config_static_selectorELNS0_4arch9wavefront6targetE1EEEvSI_,comdat
.Lfunc_end7:
	.size	_ZN7rocprim17ROCPRIM_400000_NS6detail17trampoline_kernelINS0_14default_configENS1_22reduce_config_selectorIN6thrust23THRUST_200600_302600_NS5tupleIbffNS6_9null_typeES8_S8_S8_S8_S8_S8_EEEEZNS1_11reduce_implILb1ES3_PS9_SC_S9_12reduce_tupleIifEEE10hipError_tPvRmT1_T2_T3_mT4_P12ihipStream_tbEUlT_E0_NS1_11comp_targetILNS1_3genE10ELNS1_11target_archE1200ELNS1_3gpuE4ELNS1_3repE0EEENS1_30default_config_static_selectorELNS0_4arch9wavefront6targetE1EEEvSI_, .Lfunc_end7-_ZN7rocprim17ROCPRIM_400000_NS6detail17trampoline_kernelINS0_14default_configENS1_22reduce_config_selectorIN6thrust23THRUST_200600_302600_NS5tupleIbffNS6_9null_typeES8_S8_S8_S8_S8_S8_EEEEZNS1_11reduce_implILb1ES3_PS9_SC_S9_12reduce_tupleIifEEE10hipError_tPvRmT1_T2_T3_mT4_P12ihipStream_tbEUlT_E0_NS1_11comp_targetILNS1_3genE10ELNS1_11target_archE1200ELNS1_3gpuE4ELNS1_3repE0EEENS1_30default_config_static_selectorELNS0_4arch9wavefront6targetE1EEEvSI_
                                        ; -- End function
	.set _ZN7rocprim17ROCPRIM_400000_NS6detail17trampoline_kernelINS0_14default_configENS1_22reduce_config_selectorIN6thrust23THRUST_200600_302600_NS5tupleIbffNS6_9null_typeES8_S8_S8_S8_S8_S8_EEEEZNS1_11reduce_implILb1ES3_PS9_SC_S9_12reduce_tupleIifEEE10hipError_tPvRmT1_T2_T3_mT4_P12ihipStream_tbEUlT_E0_NS1_11comp_targetILNS1_3genE10ELNS1_11target_archE1200ELNS1_3gpuE4ELNS1_3repE0EEENS1_30default_config_static_selectorELNS0_4arch9wavefront6targetE1EEEvSI_.num_vgpr, 0
	.set _ZN7rocprim17ROCPRIM_400000_NS6detail17trampoline_kernelINS0_14default_configENS1_22reduce_config_selectorIN6thrust23THRUST_200600_302600_NS5tupleIbffNS6_9null_typeES8_S8_S8_S8_S8_S8_EEEEZNS1_11reduce_implILb1ES3_PS9_SC_S9_12reduce_tupleIifEEE10hipError_tPvRmT1_T2_T3_mT4_P12ihipStream_tbEUlT_E0_NS1_11comp_targetILNS1_3genE10ELNS1_11target_archE1200ELNS1_3gpuE4ELNS1_3repE0EEENS1_30default_config_static_selectorELNS0_4arch9wavefront6targetE1EEEvSI_.num_agpr, 0
	.set _ZN7rocprim17ROCPRIM_400000_NS6detail17trampoline_kernelINS0_14default_configENS1_22reduce_config_selectorIN6thrust23THRUST_200600_302600_NS5tupleIbffNS6_9null_typeES8_S8_S8_S8_S8_S8_EEEEZNS1_11reduce_implILb1ES3_PS9_SC_S9_12reduce_tupleIifEEE10hipError_tPvRmT1_T2_T3_mT4_P12ihipStream_tbEUlT_E0_NS1_11comp_targetILNS1_3genE10ELNS1_11target_archE1200ELNS1_3gpuE4ELNS1_3repE0EEENS1_30default_config_static_selectorELNS0_4arch9wavefront6targetE1EEEvSI_.numbered_sgpr, 0
	.set _ZN7rocprim17ROCPRIM_400000_NS6detail17trampoline_kernelINS0_14default_configENS1_22reduce_config_selectorIN6thrust23THRUST_200600_302600_NS5tupleIbffNS6_9null_typeES8_S8_S8_S8_S8_S8_EEEEZNS1_11reduce_implILb1ES3_PS9_SC_S9_12reduce_tupleIifEEE10hipError_tPvRmT1_T2_T3_mT4_P12ihipStream_tbEUlT_E0_NS1_11comp_targetILNS1_3genE10ELNS1_11target_archE1200ELNS1_3gpuE4ELNS1_3repE0EEENS1_30default_config_static_selectorELNS0_4arch9wavefront6targetE1EEEvSI_.num_named_barrier, 0
	.set _ZN7rocprim17ROCPRIM_400000_NS6detail17trampoline_kernelINS0_14default_configENS1_22reduce_config_selectorIN6thrust23THRUST_200600_302600_NS5tupleIbffNS6_9null_typeES8_S8_S8_S8_S8_S8_EEEEZNS1_11reduce_implILb1ES3_PS9_SC_S9_12reduce_tupleIifEEE10hipError_tPvRmT1_T2_T3_mT4_P12ihipStream_tbEUlT_E0_NS1_11comp_targetILNS1_3genE10ELNS1_11target_archE1200ELNS1_3gpuE4ELNS1_3repE0EEENS1_30default_config_static_selectorELNS0_4arch9wavefront6targetE1EEEvSI_.private_seg_size, 0
	.set _ZN7rocprim17ROCPRIM_400000_NS6detail17trampoline_kernelINS0_14default_configENS1_22reduce_config_selectorIN6thrust23THRUST_200600_302600_NS5tupleIbffNS6_9null_typeES8_S8_S8_S8_S8_S8_EEEEZNS1_11reduce_implILb1ES3_PS9_SC_S9_12reduce_tupleIifEEE10hipError_tPvRmT1_T2_T3_mT4_P12ihipStream_tbEUlT_E0_NS1_11comp_targetILNS1_3genE10ELNS1_11target_archE1200ELNS1_3gpuE4ELNS1_3repE0EEENS1_30default_config_static_selectorELNS0_4arch9wavefront6targetE1EEEvSI_.uses_vcc, 0
	.set _ZN7rocprim17ROCPRIM_400000_NS6detail17trampoline_kernelINS0_14default_configENS1_22reduce_config_selectorIN6thrust23THRUST_200600_302600_NS5tupleIbffNS6_9null_typeES8_S8_S8_S8_S8_S8_EEEEZNS1_11reduce_implILb1ES3_PS9_SC_S9_12reduce_tupleIifEEE10hipError_tPvRmT1_T2_T3_mT4_P12ihipStream_tbEUlT_E0_NS1_11comp_targetILNS1_3genE10ELNS1_11target_archE1200ELNS1_3gpuE4ELNS1_3repE0EEENS1_30default_config_static_selectorELNS0_4arch9wavefront6targetE1EEEvSI_.uses_flat_scratch, 0
	.set _ZN7rocprim17ROCPRIM_400000_NS6detail17trampoline_kernelINS0_14default_configENS1_22reduce_config_selectorIN6thrust23THRUST_200600_302600_NS5tupleIbffNS6_9null_typeES8_S8_S8_S8_S8_S8_EEEEZNS1_11reduce_implILb1ES3_PS9_SC_S9_12reduce_tupleIifEEE10hipError_tPvRmT1_T2_T3_mT4_P12ihipStream_tbEUlT_E0_NS1_11comp_targetILNS1_3genE10ELNS1_11target_archE1200ELNS1_3gpuE4ELNS1_3repE0EEENS1_30default_config_static_selectorELNS0_4arch9wavefront6targetE1EEEvSI_.has_dyn_sized_stack, 0
	.set _ZN7rocprim17ROCPRIM_400000_NS6detail17trampoline_kernelINS0_14default_configENS1_22reduce_config_selectorIN6thrust23THRUST_200600_302600_NS5tupleIbffNS6_9null_typeES8_S8_S8_S8_S8_S8_EEEEZNS1_11reduce_implILb1ES3_PS9_SC_S9_12reduce_tupleIifEEE10hipError_tPvRmT1_T2_T3_mT4_P12ihipStream_tbEUlT_E0_NS1_11comp_targetILNS1_3genE10ELNS1_11target_archE1200ELNS1_3gpuE4ELNS1_3repE0EEENS1_30default_config_static_selectorELNS0_4arch9wavefront6targetE1EEEvSI_.has_recursion, 0
	.set _ZN7rocprim17ROCPRIM_400000_NS6detail17trampoline_kernelINS0_14default_configENS1_22reduce_config_selectorIN6thrust23THRUST_200600_302600_NS5tupleIbffNS6_9null_typeES8_S8_S8_S8_S8_S8_EEEEZNS1_11reduce_implILb1ES3_PS9_SC_S9_12reduce_tupleIifEEE10hipError_tPvRmT1_T2_T3_mT4_P12ihipStream_tbEUlT_E0_NS1_11comp_targetILNS1_3genE10ELNS1_11target_archE1200ELNS1_3gpuE4ELNS1_3repE0EEENS1_30default_config_static_selectorELNS0_4arch9wavefront6targetE1EEEvSI_.has_indirect_call, 0
	.section	.AMDGPU.csdata,"",@progbits
; Kernel info:
; codeLenInByte = 0
; TotalNumSgprs: 4
; NumVgprs: 0
; ScratchSize: 0
; MemoryBound: 0
; FloatMode: 240
; IeeeMode: 1
; LDSByteSize: 0 bytes/workgroup (compile time only)
; SGPRBlocks: 0
; VGPRBlocks: 0
; NumSGPRsForWavesPerEU: 4
; NumVGPRsForWavesPerEU: 1
; Occupancy: 10
; WaveLimiterHint : 0
; COMPUTE_PGM_RSRC2:SCRATCH_EN: 0
; COMPUTE_PGM_RSRC2:USER_SGPR: 6
; COMPUTE_PGM_RSRC2:TRAP_HANDLER: 0
; COMPUTE_PGM_RSRC2:TGID_X_EN: 1
; COMPUTE_PGM_RSRC2:TGID_Y_EN: 0
; COMPUTE_PGM_RSRC2:TGID_Z_EN: 0
; COMPUTE_PGM_RSRC2:TIDIG_COMP_CNT: 0
	.section	.text._ZN7rocprim17ROCPRIM_400000_NS6detail17trampoline_kernelINS0_14default_configENS1_22reduce_config_selectorIN6thrust23THRUST_200600_302600_NS5tupleIbffNS6_9null_typeES8_S8_S8_S8_S8_S8_EEEEZNS1_11reduce_implILb1ES3_PS9_SC_S9_12reduce_tupleIifEEE10hipError_tPvRmT1_T2_T3_mT4_P12ihipStream_tbEUlT_E0_NS1_11comp_targetILNS1_3genE9ELNS1_11target_archE1100ELNS1_3gpuE3ELNS1_3repE0EEENS1_30default_config_static_selectorELNS0_4arch9wavefront6targetE1EEEvSI_,"axG",@progbits,_ZN7rocprim17ROCPRIM_400000_NS6detail17trampoline_kernelINS0_14default_configENS1_22reduce_config_selectorIN6thrust23THRUST_200600_302600_NS5tupleIbffNS6_9null_typeES8_S8_S8_S8_S8_S8_EEEEZNS1_11reduce_implILb1ES3_PS9_SC_S9_12reduce_tupleIifEEE10hipError_tPvRmT1_T2_T3_mT4_P12ihipStream_tbEUlT_E0_NS1_11comp_targetILNS1_3genE9ELNS1_11target_archE1100ELNS1_3gpuE3ELNS1_3repE0EEENS1_30default_config_static_selectorELNS0_4arch9wavefront6targetE1EEEvSI_,comdat
	.protected	_ZN7rocprim17ROCPRIM_400000_NS6detail17trampoline_kernelINS0_14default_configENS1_22reduce_config_selectorIN6thrust23THRUST_200600_302600_NS5tupleIbffNS6_9null_typeES8_S8_S8_S8_S8_S8_EEEEZNS1_11reduce_implILb1ES3_PS9_SC_S9_12reduce_tupleIifEEE10hipError_tPvRmT1_T2_T3_mT4_P12ihipStream_tbEUlT_E0_NS1_11comp_targetILNS1_3genE9ELNS1_11target_archE1100ELNS1_3gpuE3ELNS1_3repE0EEENS1_30default_config_static_selectorELNS0_4arch9wavefront6targetE1EEEvSI_ ; -- Begin function _ZN7rocprim17ROCPRIM_400000_NS6detail17trampoline_kernelINS0_14default_configENS1_22reduce_config_selectorIN6thrust23THRUST_200600_302600_NS5tupleIbffNS6_9null_typeES8_S8_S8_S8_S8_S8_EEEEZNS1_11reduce_implILb1ES3_PS9_SC_S9_12reduce_tupleIifEEE10hipError_tPvRmT1_T2_T3_mT4_P12ihipStream_tbEUlT_E0_NS1_11comp_targetILNS1_3genE9ELNS1_11target_archE1100ELNS1_3gpuE3ELNS1_3repE0EEENS1_30default_config_static_selectorELNS0_4arch9wavefront6targetE1EEEvSI_
	.globl	_ZN7rocprim17ROCPRIM_400000_NS6detail17trampoline_kernelINS0_14default_configENS1_22reduce_config_selectorIN6thrust23THRUST_200600_302600_NS5tupleIbffNS6_9null_typeES8_S8_S8_S8_S8_S8_EEEEZNS1_11reduce_implILb1ES3_PS9_SC_S9_12reduce_tupleIifEEE10hipError_tPvRmT1_T2_T3_mT4_P12ihipStream_tbEUlT_E0_NS1_11comp_targetILNS1_3genE9ELNS1_11target_archE1100ELNS1_3gpuE3ELNS1_3repE0EEENS1_30default_config_static_selectorELNS0_4arch9wavefront6targetE1EEEvSI_
	.p2align	8
	.type	_ZN7rocprim17ROCPRIM_400000_NS6detail17trampoline_kernelINS0_14default_configENS1_22reduce_config_selectorIN6thrust23THRUST_200600_302600_NS5tupleIbffNS6_9null_typeES8_S8_S8_S8_S8_S8_EEEEZNS1_11reduce_implILb1ES3_PS9_SC_S9_12reduce_tupleIifEEE10hipError_tPvRmT1_T2_T3_mT4_P12ihipStream_tbEUlT_E0_NS1_11comp_targetILNS1_3genE9ELNS1_11target_archE1100ELNS1_3gpuE3ELNS1_3repE0EEENS1_30default_config_static_selectorELNS0_4arch9wavefront6targetE1EEEvSI_,@function
_ZN7rocprim17ROCPRIM_400000_NS6detail17trampoline_kernelINS0_14default_configENS1_22reduce_config_selectorIN6thrust23THRUST_200600_302600_NS5tupleIbffNS6_9null_typeES8_S8_S8_S8_S8_S8_EEEEZNS1_11reduce_implILb1ES3_PS9_SC_S9_12reduce_tupleIifEEE10hipError_tPvRmT1_T2_T3_mT4_P12ihipStream_tbEUlT_E0_NS1_11comp_targetILNS1_3genE9ELNS1_11target_archE1100ELNS1_3gpuE3ELNS1_3repE0EEENS1_30default_config_static_selectorELNS0_4arch9wavefront6targetE1EEEvSI_: ; @_ZN7rocprim17ROCPRIM_400000_NS6detail17trampoline_kernelINS0_14default_configENS1_22reduce_config_selectorIN6thrust23THRUST_200600_302600_NS5tupleIbffNS6_9null_typeES8_S8_S8_S8_S8_S8_EEEEZNS1_11reduce_implILb1ES3_PS9_SC_S9_12reduce_tupleIifEEE10hipError_tPvRmT1_T2_T3_mT4_P12ihipStream_tbEUlT_E0_NS1_11comp_targetILNS1_3genE9ELNS1_11target_archE1100ELNS1_3gpuE3ELNS1_3repE0EEENS1_30default_config_static_selectorELNS0_4arch9wavefront6targetE1EEEvSI_
; %bb.0:
	.section	.rodata,"a",@progbits
	.p2align	6, 0x0
	.amdhsa_kernel _ZN7rocprim17ROCPRIM_400000_NS6detail17trampoline_kernelINS0_14default_configENS1_22reduce_config_selectorIN6thrust23THRUST_200600_302600_NS5tupleIbffNS6_9null_typeES8_S8_S8_S8_S8_S8_EEEEZNS1_11reduce_implILb1ES3_PS9_SC_S9_12reduce_tupleIifEEE10hipError_tPvRmT1_T2_T3_mT4_P12ihipStream_tbEUlT_E0_NS1_11comp_targetILNS1_3genE9ELNS1_11target_archE1100ELNS1_3gpuE3ELNS1_3repE0EEENS1_30default_config_static_selectorELNS0_4arch9wavefront6targetE1EEEvSI_
		.amdhsa_group_segment_fixed_size 0
		.amdhsa_private_segment_fixed_size 0
		.amdhsa_kernarg_size 64
		.amdhsa_user_sgpr_count 6
		.amdhsa_user_sgpr_private_segment_buffer 1
		.amdhsa_user_sgpr_dispatch_ptr 0
		.amdhsa_user_sgpr_queue_ptr 0
		.amdhsa_user_sgpr_kernarg_segment_ptr 1
		.amdhsa_user_sgpr_dispatch_id 0
		.amdhsa_user_sgpr_flat_scratch_init 0
		.amdhsa_user_sgpr_private_segment_size 0
		.amdhsa_uses_dynamic_stack 0
		.amdhsa_system_sgpr_private_segment_wavefront_offset 0
		.amdhsa_system_sgpr_workgroup_id_x 1
		.amdhsa_system_sgpr_workgroup_id_y 0
		.amdhsa_system_sgpr_workgroup_id_z 0
		.amdhsa_system_sgpr_workgroup_info 0
		.amdhsa_system_vgpr_workitem_id 0
		.amdhsa_next_free_vgpr 1
		.amdhsa_next_free_sgpr 0
		.amdhsa_reserve_vcc 0
		.amdhsa_reserve_flat_scratch 0
		.amdhsa_float_round_mode_32 0
		.amdhsa_float_round_mode_16_64 0
		.amdhsa_float_denorm_mode_32 3
		.amdhsa_float_denorm_mode_16_64 3
		.amdhsa_dx10_clamp 1
		.amdhsa_ieee_mode 1
		.amdhsa_fp16_overflow 0
		.amdhsa_exception_fp_ieee_invalid_op 0
		.amdhsa_exception_fp_denorm_src 0
		.amdhsa_exception_fp_ieee_div_zero 0
		.amdhsa_exception_fp_ieee_overflow 0
		.amdhsa_exception_fp_ieee_underflow 0
		.amdhsa_exception_fp_ieee_inexact 0
		.amdhsa_exception_int_div_zero 0
	.end_amdhsa_kernel
	.section	.text._ZN7rocprim17ROCPRIM_400000_NS6detail17trampoline_kernelINS0_14default_configENS1_22reduce_config_selectorIN6thrust23THRUST_200600_302600_NS5tupleIbffNS6_9null_typeES8_S8_S8_S8_S8_S8_EEEEZNS1_11reduce_implILb1ES3_PS9_SC_S9_12reduce_tupleIifEEE10hipError_tPvRmT1_T2_T3_mT4_P12ihipStream_tbEUlT_E0_NS1_11comp_targetILNS1_3genE9ELNS1_11target_archE1100ELNS1_3gpuE3ELNS1_3repE0EEENS1_30default_config_static_selectorELNS0_4arch9wavefront6targetE1EEEvSI_,"axG",@progbits,_ZN7rocprim17ROCPRIM_400000_NS6detail17trampoline_kernelINS0_14default_configENS1_22reduce_config_selectorIN6thrust23THRUST_200600_302600_NS5tupleIbffNS6_9null_typeES8_S8_S8_S8_S8_S8_EEEEZNS1_11reduce_implILb1ES3_PS9_SC_S9_12reduce_tupleIifEEE10hipError_tPvRmT1_T2_T3_mT4_P12ihipStream_tbEUlT_E0_NS1_11comp_targetILNS1_3genE9ELNS1_11target_archE1100ELNS1_3gpuE3ELNS1_3repE0EEENS1_30default_config_static_selectorELNS0_4arch9wavefront6targetE1EEEvSI_,comdat
.Lfunc_end8:
	.size	_ZN7rocprim17ROCPRIM_400000_NS6detail17trampoline_kernelINS0_14default_configENS1_22reduce_config_selectorIN6thrust23THRUST_200600_302600_NS5tupleIbffNS6_9null_typeES8_S8_S8_S8_S8_S8_EEEEZNS1_11reduce_implILb1ES3_PS9_SC_S9_12reduce_tupleIifEEE10hipError_tPvRmT1_T2_T3_mT4_P12ihipStream_tbEUlT_E0_NS1_11comp_targetILNS1_3genE9ELNS1_11target_archE1100ELNS1_3gpuE3ELNS1_3repE0EEENS1_30default_config_static_selectorELNS0_4arch9wavefront6targetE1EEEvSI_, .Lfunc_end8-_ZN7rocprim17ROCPRIM_400000_NS6detail17trampoline_kernelINS0_14default_configENS1_22reduce_config_selectorIN6thrust23THRUST_200600_302600_NS5tupleIbffNS6_9null_typeES8_S8_S8_S8_S8_S8_EEEEZNS1_11reduce_implILb1ES3_PS9_SC_S9_12reduce_tupleIifEEE10hipError_tPvRmT1_T2_T3_mT4_P12ihipStream_tbEUlT_E0_NS1_11comp_targetILNS1_3genE9ELNS1_11target_archE1100ELNS1_3gpuE3ELNS1_3repE0EEENS1_30default_config_static_selectorELNS0_4arch9wavefront6targetE1EEEvSI_
                                        ; -- End function
	.set _ZN7rocprim17ROCPRIM_400000_NS6detail17trampoline_kernelINS0_14default_configENS1_22reduce_config_selectorIN6thrust23THRUST_200600_302600_NS5tupleIbffNS6_9null_typeES8_S8_S8_S8_S8_S8_EEEEZNS1_11reduce_implILb1ES3_PS9_SC_S9_12reduce_tupleIifEEE10hipError_tPvRmT1_T2_T3_mT4_P12ihipStream_tbEUlT_E0_NS1_11comp_targetILNS1_3genE9ELNS1_11target_archE1100ELNS1_3gpuE3ELNS1_3repE0EEENS1_30default_config_static_selectorELNS0_4arch9wavefront6targetE1EEEvSI_.num_vgpr, 0
	.set _ZN7rocprim17ROCPRIM_400000_NS6detail17trampoline_kernelINS0_14default_configENS1_22reduce_config_selectorIN6thrust23THRUST_200600_302600_NS5tupleIbffNS6_9null_typeES8_S8_S8_S8_S8_S8_EEEEZNS1_11reduce_implILb1ES3_PS9_SC_S9_12reduce_tupleIifEEE10hipError_tPvRmT1_T2_T3_mT4_P12ihipStream_tbEUlT_E0_NS1_11comp_targetILNS1_3genE9ELNS1_11target_archE1100ELNS1_3gpuE3ELNS1_3repE0EEENS1_30default_config_static_selectorELNS0_4arch9wavefront6targetE1EEEvSI_.num_agpr, 0
	.set _ZN7rocprim17ROCPRIM_400000_NS6detail17trampoline_kernelINS0_14default_configENS1_22reduce_config_selectorIN6thrust23THRUST_200600_302600_NS5tupleIbffNS6_9null_typeES8_S8_S8_S8_S8_S8_EEEEZNS1_11reduce_implILb1ES3_PS9_SC_S9_12reduce_tupleIifEEE10hipError_tPvRmT1_T2_T3_mT4_P12ihipStream_tbEUlT_E0_NS1_11comp_targetILNS1_3genE9ELNS1_11target_archE1100ELNS1_3gpuE3ELNS1_3repE0EEENS1_30default_config_static_selectorELNS0_4arch9wavefront6targetE1EEEvSI_.numbered_sgpr, 0
	.set _ZN7rocprim17ROCPRIM_400000_NS6detail17trampoline_kernelINS0_14default_configENS1_22reduce_config_selectorIN6thrust23THRUST_200600_302600_NS5tupleIbffNS6_9null_typeES8_S8_S8_S8_S8_S8_EEEEZNS1_11reduce_implILb1ES3_PS9_SC_S9_12reduce_tupleIifEEE10hipError_tPvRmT1_T2_T3_mT4_P12ihipStream_tbEUlT_E0_NS1_11comp_targetILNS1_3genE9ELNS1_11target_archE1100ELNS1_3gpuE3ELNS1_3repE0EEENS1_30default_config_static_selectorELNS0_4arch9wavefront6targetE1EEEvSI_.num_named_barrier, 0
	.set _ZN7rocprim17ROCPRIM_400000_NS6detail17trampoline_kernelINS0_14default_configENS1_22reduce_config_selectorIN6thrust23THRUST_200600_302600_NS5tupleIbffNS6_9null_typeES8_S8_S8_S8_S8_S8_EEEEZNS1_11reduce_implILb1ES3_PS9_SC_S9_12reduce_tupleIifEEE10hipError_tPvRmT1_T2_T3_mT4_P12ihipStream_tbEUlT_E0_NS1_11comp_targetILNS1_3genE9ELNS1_11target_archE1100ELNS1_3gpuE3ELNS1_3repE0EEENS1_30default_config_static_selectorELNS0_4arch9wavefront6targetE1EEEvSI_.private_seg_size, 0
	.set _ZN7rocprim17ROCPRIM_400000_NS6detail17trampoline_kernelINS0_14default_configENS1_22reduce_config_selectorIN6thrust23THRUST_200600_302600_NS5tupleIbffNS6_9null_typeES8_S8_S8_S8_S8_S8_EEEEZNS1_11reduce_implILb1ES3_PS9_SC_S9_12reduce_tupleIifEEE10hipError_tPvRmT1_T2_T3_mT4_P12ihipStream_tbEUlT_E0_NS1_11comp_targetILNS1_3genE9ELNS1_11target_archE1100ELNS1_3gpuE3ELNS1_3repE0EEENS1_30default_config_static_selectorELNS0_4arch9wavefront6targetE1EEEvSI_.uses_vcc, 0
	.set _ZN7rocprim17ROCPRIM_400000_NS6detail17trampoline_kernelINS0_14default_configENS1_22reduce_config_selectorIN6thrust23THRUST_200600_302600_NS5tupleIbffNS6_9null_typeES8_S8_S8_S8_S8_S8_EEEEZNS1_11reduce_implILb1ES3_PS9_SC_S9_12reduce_tupleIifEEE10hipError_tPvRmT1_T2_T3_mT4_P12ihipStream_tbEUlT_E0_NS1_11comp_targetILNS1_3genE9ELNS1_11target_archE1100ELNS1_3gpuE3ELNS1_3repE0EEENS1_30default_config_static_selectorELNS0_4arch9wavefront6targetE1EEEvSI_.uses_flat_scratch, 0
	.set _ZN7rocprim17ROCPRIM_400000_NS6detail17trampoline_kernelINS0_14default_configENS1_22reduce_config_selectorIN6thrust23THRUST_200600_302600_NS5tupleIbffNS6_9null_typeES8_S8_S8_S8_S8_S8_EEEEZNS1_11reduce_implILb1ES3_PS9_SC_S9_12reduce_tupleIifEEE10hipError_tPvRmT1_T2_T3_mT4_P12ihipStream_tbEUlT_E0_NS1_11comp_targetILNS1_3genE9ELNS1_11target_archE1100ELNS1_3gpuE3ELNS1_3repE0EEENS1_30default_config_static_selectorELNS0_4arch9wavefront6targetE1EEEvSI_.has_dyn_sized_stack, 0
	.set _ZN7rocprim17ROCPRIM_400000_NS6detail17trampoline_kernelINS0_14default_configENS1_22reduce_config_selectorIN6thrust23THRUST_200600_302600_NS5tupleIbffNS6_9null_typeES8_S8_S8_S8_S8_S8_EEEEZNS1_11reduce_implILb1ES3_PS9_SC_S9_12reduce_tupleIifEEE10hipError_tPvRmT1_T2_T3_mT4_P12ihipStream_tbEUlT_E0_NS1_11comp_targetILNS1_3genE9ELNS1_11target_archE1100ELNS1_3gpuE3ELNS1_3repE0EEENS1_30default_config_static_selectorELNS0_4arch9wavefront6targetE1EEEvSI_.has_recursion, 0
	.set _ZN7rocprim17ROCPRIM_400000_NS6detail17trampoline_kernelINS0_14default_configENS1_22reduce_config_selectorIN6thrust23THRUST_200600_302600_NS5tupleIbffNS6_9null_typeES8_S8_S8_S8_S8_S8_EEEEZNS1_11reduce_implILb1ES3_PS9_SC_S9_12reduce_tupleIifEEE10hipError_tPvRmT1_T2_T3_mT4_P12ihipStream_tbEUlT_E0_NS1_11comp_targetILNS1_3genE9ELNS1_11target_archE1100ELNS1_3gpuE3ELNS1_3repE0EEENS1_30default_config_static_selectorELNS0_4arch9wavefront6targetE1EEEvSI_.has_indirect_call, 0
	.section	.AMDGPU.csdata,"",@progbits
; Kernel info:
; codeLenInByte = 0
; TotalNumSgprs: 4
; NumVgprs: 0
; ScratchSize: 0
; MemoryBound: 0
; FloatMode: 240
; IeeeMode: 1
; LDSByteSize: 0 bytes/workgroup (compile time only)
; SGPRBlocks: 0
; VGPRBlocks: 0
; NumSGPRsForWavesPerEU: 4
; NumVGPRsForWavesPerEU: 1
; Occupancy: 10
; WaveLimiterHint : 0
; COMPUTE_PGM_RSRC2:SCRATCH_EN: 0
; COMPUTE_PGM_RSRC2:USER_SGPR: 6
; COMPUTE_PGM_RSRC2:TRAP_HANDLER: 0
; COMPUTE_PGM_RSRC2:TGID_X_EN: 1
; COMPUTE_PGM_RSRC2:TGID_Y_EN: 0
; COMPUTE_PGM_RSRC2:TGID_Z_EN: 0
; COMPUTE_PGM_RSRC2:TIDIG_COMP_CNT: 0
	.section	.text._ZN7rocprim17ROCPRIM_400000_NS6detail17trampoline_kernelINS0_14default_configENS1_22reduce_config_selectorIN6thrust23THRUST_200600_302600_NS5tupleIbffNS6_9null_typeES8_S8_S8_S8_S8_S8_EEEEZNS1_11reduce_implILb1ES3_PS9_SC_S9_12reduce_tupleIifEEE10hipError_tPvRmT1_T2_T3_mT4_P12ihipStream_tbEUlT_E0_NS1_11comp_targetILNS1_3genE8ELNS1_11target_archE1030ELNS1_3gpuE2ELNS1_3repE0EEENS1_30default_config_static_selectorELNS0_4arch9wavefront6targetE1EEEvSI_,"axG",@progbits,_ZN7rocprim17ROCPRIM_400000_NS6detail17trampoline_kernelINS0_14default_configENS1_22reduce_config_selectorIN6thrust23THRUST_200600_302600_NS5tupleIbffNS6_9null_typeES8_S8_S8_S8_S8_S8_EEEEZNS1_11reduce_implILb1ES3_PS9_SC_S9_12reduce_tupleIifEEE10hipError_tPvRmT1_T2_T3_mT4_P12ihipStream_tbEUlT_E0_NS1_11comp_targetILNS1_3genE8ELNS1_11target_archE1030ELNS1_3gpuE2ELNS1_3repE0EEENS1_30default_config_static_selectorELNS0_4arch9wavefront6targetE1EEEvSI_,comdat
	.protected	_ZN7rocprim17ROCPRIM_400000_NS6detail17trampoline_kernelINS0_14default_configENS1_22reduce_config_selectorIN6thrust23THRUST_200600_302600_NS5tupleIbffNS6_9null_typeES8_S8_S8_S8_S8_S8_EEEEZNS1_11reduce_implILb1ES3_PS9_SC_S9_12reduce_tupleIifEEE10hipError_tPvRmT1_T2_T3_mT4_P12ihipStream_tbEUlT_E0_NS1_11comp_targetILNS1_3genE8ELNS1_11target_archE1030ELNS1_3gpuE2ELNS1_3repE0EEENS1_30default_config_static_selectorELNS0_4arch9wavefront6targetE1EEEvSI_ ; -- Begin function _ZN7rocprim17ROCPRIM_400000_NS6detail17trampoline_kernelINS0_14default_configENS1_22reduce_config_selectorIN6thrust23THRUST_200600_302600_NS5tupleIbffNS6_9null_typeES8_S8_S8_S8_S8_S8_EEEEZNS1_11reduce_implILb1ES3_PS9_SC_S9_12reduce_tupleIifEEE10hipError_tPvRmT1_T2_T3_mT4_P12ihipStream_tbEUlT_E0_NS1_11comp_targetILNS1_3genE8ELNS1_11target_archE1030ELNS1_3gpuE2ELNS1_3repE0EEENS1_30default_config_static_selectorELNS0_4arch9wavefront6targetE1EEEvSI_
	.globl	_ZN7rocprim17ROCPRIM_400000_NS6detail17trampoline_kernelINS0_14default_configENS1_22reduce_config_selectorIN6thrust23THRUST_200600_302600_NS5tupleIbffNS6_9null_typeES8_S8_S8_S8_S8_S8_EEEEZNS1_11reduce_implILb1ES3_PS9_SC_S9_12reduce_tupleIifEEE10hipError_tPvRmT1_T2_T3_mT4_P12ihipStream_tbEUlT_E0_NS1_11comp_targetILNS1_3genE8ELNS1_11target_archE1030ELNS1_3gpuE2ELNS1_3repE0EEENS1_30default_config_static_selectorELNS0_4arch9wavefront6targetE1EEEvSI_
	.p2align	8
	.type	_ZN7rocprim17ROCPRIM_400000_NS6detail17trampoline_kernelINS0_14default_configENS1_22reduce_config_selectorIN6thrust23THRUST_200600_302600_NS5tupleIbffNS6_9null_typeES8_S8_S8_S8_S8_S8_EEEEZNS1_11reduce_implILb1ES3_PS9_SC_S9_12reduce_tupleIifEEE10hipError_tPvRmT1_T2_T3_mT4_P12ihipStream_tbEUlT_E0_NS1_11comp_targetILNS1_3genE8ELNS1_11target_archE1030ELNS1_3gpuE2ELNS1_3repE0EEENS1_30default_config_static_selectorELNS0_4arch9wavefront6targetE1EEEvSI_,@function
_ZN7rocprim17ROCPRIM_400000_NS6detail17trampoline_kernelINS0_14default_configENS1_22reduce_config_selectorIN6thrust23THRUST_200600_302600_NS5tupleIbffNS6_9null_typeES8_S8_S8_S8_S8_S8_EEEEZNS1_11reduce_implILb1ES3_PS9_SC_S9_12reduce_tupleIifEEE10hipError_tPvRmT1_T2_T3_mT4_P12ihipStream_tbEUlT_E0_NS1_11comp_targetILNS1_3genE8ELNS1_11target_archE1030ELNS1_3gpuE2ELNS1_3repE0EEENS1_30default_config_static_selectorELNS0_4arch9wavefront6targetE1EEEvSI_: ; @_ZN7rocprim17ROCPRIM_400000_NS6detail17trampoline_kernelINS0_14default_configENS1_22reduce_config_selectorIN6thrust23THRUST_200600_302600_NS5tupleIbffNS6_9null_typeES8_S8_S8_S8_S8_S8_EEEEZNS1_11reduce_implILb1ES3_PS9_SC_S9_12reduce_tupleIifEEE10hipError_tPvRmT1_T2_T3_mT4_P12ihipStream_tbEUlT_E0_NS1_11comp_targetILNS1_3genE8ELNS1_11target_archE1030ELNS1_3gpuE2ELNS1_3repE0EEENS1_30default_config_static_selectorELNS0_4arch9wavefront6targetE1EEEvSI_
; %bb.0:
	.section	.rodata,"a",@progbits
	.p2align	6, 0x0
	.amdhsa_kernel _ZN7rocprim17ROCPRIM_400000_NS6detail17trampoline_kernelINS0_14default_configENS1_22reduce_config_selectorIN6thrust23THRUST_200600_302600_NS5tupleIbffNS6_9null_typeES8_S8_S8_S8_S8_S8_EEEEZNS1_11reduce_implILb1ES3_PS9_SC_S9_12reduce_tupleIifEEE10hipError_tPvRmT1_T2_T3_mT4_P12ihipStream_tbEUlT_E0_NS1_11comp_targetILNS1_3genE8ELNS1_11target_archE1030ELNS1_3gpuE2ELNS1_3repE0EEENS1_30default_config_static_selectorELNS0_4arch9wavefront6targetE1EEEvSI_
		.amdhsa_group_segment_fixed_size 0
		.amdhsa_private_segment_fixed_size 0
		.amdhsa_kernarg_size 64
		.amdhsa_user_sgpr_count 6
		.amdhsa_user_sgpr_private_segment_buffer 1
		.amdhsa_user_sgpr_dispatch_ptr 0
		.amdhsa_user_sgpr_queue_ptr 0
		.amdhsa_user_sgpr_kernarg_segment_ptr 1
		.amdhsa_user_sgpr_dispatch_id 0
		.amdhsa_user_sgpr_flat_scratch_init 0
		.amdhsa_user_sgpr_private_segment_size 0
		.amdhsa_uses_dynamic_stack 0
		.amdhsa_system_sgpr_private_segment_wavefront_offset 0
		.amdhsa_system_sgpr_workgroup_id_x 1
		.amdhsa_system_sgpr_workgroup_id_y 0
		.amdhsa_system_sgpr_workgroup_id_z 0
		.amdhsa_system_sgpr_workgroup_info 0
		.amdhsa_system_vgpr_workitem_id 0
		.amdhsa_next_free_vgpr 1
		.amdhsa_next_free_sgpr 0
		.amdhsa_reserve_vcc 0
		.amdhsa_reserve_flat_scratch 0
		.amdhsa_float_round_mode_32 0
		.amdhsa_float_round_mode_16_64 0
		.amdhsa_float_denorm_mode_32 3
		.amdhsa_float_denorm_mode_16_64 3
		.amdhsa_dx10_clamp 1
		.amdhsa_ieee_mode 1
		.amdhsa_fp16_overflow 0
		.amdhsa_exception_fp_ieee_invalid_op 0
		.amdhsa_exception_fp_denorm_src 0
		.amdhsa_exception_fp_ieee_div_zero 0
		.amdhsa_exception_fp_ieee_overflow 0
		.amdhsa_exception_fp_ieee_underflow 0
		.amdhsa_exception_fp_ieee_inexact 0
		.amdhsa_exception_int_div_zero 0
	.end_amdhsa_kernel
	.section	.text._ZN7rocprim17ROCPRIM_400000_NS6detail17trampoline_kernelINS0_14default_configENS1_22reduce_config_selectorIN6thrust23THRUST_200600_302600_NS5tupleIbffNS6_9null_typeES8_S8_S8_S8_S8_S8_EEEEZNS1_11reduce_implILb1ES3_PS9_SC_S9_12reduce_tupleIifEEE10hipError_tPvRmT1_T2_T3_mT4_P12ihipStream_tbEUlT_E0_NS1_11comp_targetILNS1_3genE8ELNS1_11target_archE1030ELNS1_3gpuE2ELNS1_3repE0EEENS1_30default_config_static_selectorELNS0_4arch9wavefront6targetE1EEEvSI_,"axG",@progbits,_ZN7rocprim17ROCPRIM_400000_NS6detail17trampoline_kernelINS0_14default_configENS1_22reduce_config_selectorIN6thrust23THRUST_200600_302600_NS5tupleIbffNS6_9null_typeES8_S8_S8_S8_S8_S8_EEEEZNS1_11reduce_implILb1ES3_PS9_SC_S9_12reduce_tupleIifEEE10hipError_tPvRmT1_T2_T3_mT4_P12ihipStream_tbEUlT_E0_NS1_11comp_targetILNS1_3genE8ELNS1_11target_archE1030ELNS1_3gpuE2ELNS1_3repE0EEENS1_30default_config_static_selectorELNS0_4arch9wavefront6targetE1EEEvSI_,comdat
.Lfunc_end9:
	.size	_ZN7rocprim17ROCPRIM_400000_NS6detail17trampoline_kernelINS0_14default_configENS1_22reduce_config_selectorIN6thrust23THRUST_200600_302600_NS5tupleIbffNS6_9null_typeES8_S8_S8_S8_S8_S8_EEEEZNS1_11reduce_implILb1ES3_PS9_SC_S9_12reduce_tupleIifEEE10hipError_tPvRmT1_T2_T3_mT4_P12ihipStream_tbEUlT_E0_NS1_11comp_targetILNS1_3genE8ELNS1_11target_archE1030ELNS1_3gpuE2ELNS1_3repE0EEENS1_30default_config_static_selectorELNS0_4arch9wavefront6targetE1EEEvSI_, .Lfunc_end9-_ZN7rocprim17ROCPRIM_400000_NS6detail17trampoline_kernelINS0_14default_configENS1_22reduce_config_selectorIN6thrust23THRUST_200600_302600_NS5tupleIbffNS6_9null_typeES8_S8_S8_S8_S8_S8_EEEEZNS1_11reduce_implILb1ES3_PS9_SC_S9_12reduce_tupleIifEEE10hipError_tPvRmT1_T2_T3_mT4_P12ihipStream_tbEUlT_E0_NS1_11comp_targetILNS1_3genE8ELNS1_11target_archE1030ELNS1_3gpuE2ELNS1_3repE0EEENS1_30default_config_static_selectorELNS0_4arch9wavefront6targetE1EEEvSI_
                                        ; -- End function
	.set _ZN7rocprim17ROCPRIM_400000_NS6detail17trampoline_kernelINS0_14default_configENS1_22reduce_config_selectorIN6thrust23THRUST_200600_302600_NS5tupleIbffNS6_9null_typeES8_S8_S8_S8_S8_S8_EEEEZNS1_11reduce_implILb1ES3_PS9_SC_S9_12reduce_tupleIifEEE10hipError_tPvRmT1_T2_T3_mT4_P12ihipStream_tbEUlT_E0_NS1_11comp_targetILNS1_3genE8ELNS1_11target_archE1030ELNS1_3gpuE2ELNS1_3repE0EEENS1_30default_config_static_selectorELNS0_4arch9wavefront6targetE1EEEvSI_.num_vgpr, 0
	.set _ZN7rocprim17ROCPRIM_400000_NS6detail17trampoline_kernelINS0_14default_configENS1_22reduce_config_selectorIN6thrust23THRUST_200600_302600_NS5tupleIbffNS6_9null_typeES8_S8_S8_S8_S8_S8_EEEEZNS1_11reduce_implILb1ES3_PS9_SC_S9_12reduce_tupleIifEEE10hipError_tPvRmT1_T2_T3_mT4_P12ihipStream_tbEUlT_E0_NS1_11comp_targetILNS1_3genE8ELNS1_11target_archE1030ELNS1_3gpuE2ELNS1_3repE0EEENS1_30default_config_static_selectorELNS0_4arch9wavefront6targetE1EEEvSI_.num_agpr, 0
	.set _ZN7rocprim17ROCPRIM_400000_NS6detail17trampoline_kernelINS0_14default_configENS1_22reduce_config_selectorIN6thrust23THRUST_200600_302600_NS5tupleIbffNS6_9null_typeES8_S8_S8_S8_S8_S8_EEEEZNS1_11reduce_implILb1ES3_PS9_SC_S9_12reduce_tupleIifEEE10hipError_tPvRmT1_T2_T3_mT4_P12ihipStream_tbEUlT_E0_NS1_11comp_targetILNS1_3genE8ELNS1_11target_archE1030ELNS1_3gpuE2ELNS1_3repE0EEENS1_30default_config_static_selectorELNS0_4arch9wavefront6targetE1EEEvSI_.numbered_sgpr, 0
	.set _ZN7rocprim17ROCPRIM_400000_NS6detail17trampoline_kernelINS0_14default_configENS1_22reduce_config_selectorIN6thrust23THRUST_200600_302600_NS5tupleIbffNS6_9null_typeES8_S8_S8_S8_S8_S8_EEEEZNS1_11reduce_implILb1ES3_PS9_SC_S9_12reduce_tupleIifEEE10hipError_tPvRmT1_T2_T3_mT4_P12ihipStream_tbEUlT_E0_NS1_11comp_targetILNS1_3genE8ELNS1_11target_archE1030ELNS1_3gpuE2ELNS1_3repE0EEENS1_30default_config_static_selectorELNS0_4arch9wavefront6targetE1EEEvSI_.num_named_barrier, 0
	.set _ZN7rocprim17ROCPRIM_400000_NS6detail17trampoline_kernelINS0_14default_configENS1_22reduce_config_selectorIN6thrust23THRUST_200600_302600_NS5tupleIbffNS6_9null_typeES8_S8_S8_S8_S8_S8_EEEEZNS1_11reduce_implILb1ES3_PS9_SC_S9_12reduce_tupleIifEEE10hipError_tPvRmT1_T2_T3_mT4_P12ihipStream_tbEUlT_E0_NS1_11comp_targetILNS1_3genE8ELNS1_11target_archE1030ELNS1_3gpuE2ELNS1_3repE0EEENS1_30default_config_static_selectorELNS0_4arch9wavefront6targetE1EEEvSI_.private_seg_size, 0
	.set _ZN7rocprim17ROCPRIM_400000_NS6detail17trampoline_kernelINS0_14default_configENS1_22reduce_config_selectorIN6thrust23THRUST_200600_302600_NS5tupleIbffNS6_9null_typeES8_S8_S8_S8_S8_S8_EEEEZNS1_11reduce_implILb1ES3_PS9_SC_S9_12reduce_tupleIifEEE10hipError_tPvRmT1_T2_T3_mT4_P12ihipStream_tbEUlT_E0_NS1_11comp_targetILNS1_3genE8ELNS1_11target_archE1030ELNS1_3gpuE2ELNS1_3repE0EEENS1_30default_config_static_selectorELNS0_4arch9wavefront6targetE1EEEvSI_.uses_vcc, 0
	.set _ZN7rocprim17ROCPRIM_400000_NS6detail17trampoline_kernelINS0_14default_configENS1_22reduce_config_selectorIN6thrust23THRUST_200600_302600_NS5tupleIbffNS6_9null_typeES8_S8_S8_S8_S8_S8_EEEEZNS1_11reduce_implILb1ES3_PS9_SC_S9_12reduce_tupleIifEEE10hipError_tPvRmT1_T2_T3_mT4_P12ihipStream_tbEUlT_E0_NS1_11comp_targetILNS1_3genE8ELNS1_11target_archE1030ELNS1_3gpuE2ELNS1_3repE0EEENS1_30default_config_static_selectorELNS0_4arch9wavefront6targetE1EEEvSI_.uses_flat_scratch, 0
	.set _ZN7rocprim17ROCPRIM_400000_NS6detail17trampoline_kernelINS0_14default_configENS1_22reduce_config_selectorIN6thrust23THRUST_200600_302600_NS5tupleIbffNS6_9null_typeES8_S8_S8_S8_S8_S8_EEEEZNS1_11reduce_implILb1ES3_PS9_SC_S9_12reduce_tupleIifEEE10hipError_tPvRmT1_T2_T3_mT4_P12ihipStream_tbEUlT_E0_NS1_11comp_targetILNS1_3genE8ELNS1_11target_archE1030ELNS1_3gpuE2ELNS1_3repE0EEENS1_30default_config_static_selectorELNS0_4arch9wavefront6targetE1EEEvSI_.has_dyn_sized_stack, 0
	.set _ZN7rocprim17ROCPRIM_400000_NS6detail17trampoline_kernelINS0_14default_configENS1_22reduce_config_selectorIN6thrust23THRUST_200600_302600_NS5tupleIbffNS6_9null_typeES8_S8_S8_S8_S8_S8_EEEEZNS1_11reduce_implILb1ES3_PS9_SC_S9_12reduce_tupleIifEEE10hipError_tPvRmT1_T2_T3_mT4_P12ihipStream_tbEUlT_E0_NS1_11comp_targetILNS1_3genE8ELNS1_11target_archE1030ELNS1_3gpuE2ELNS1_3repE0EEENS1_30default_config_static_selectorELNS0_4arch9wavefront6targetE1EEEvSI_.has_recursion, 0
	.set _ZN7rocprim17ROCPRIM_400000_NS6detail17trampoline_kernelINS0_14default_configENS1_22reduce_config_selectorIN6thrust23THRUST_200600_302600_NS5tupleIbffNS6_9null_typeES8_S8_S8_S8_S8_S8_EEEEZNS1_11reduce_implILb1ES3_PS9_SC_S9_12reduce_tupleIifEEE10hipError_tPvRmT1_T2_T3_mT4_P12ihipStream_tbEUlT_E0_NS1_11comp_targetILNS1_3genE8ELNS1_11target_archE1030ELNS1_3gpuE2ELNS1_3repE0EEENS1_30default_config_static_selectorELNS0_4arch9wavefront6targetE1EEEvSI_.has_indirect_call, 0
	.section	.AMDGPU.csdata,"",@progbits
; Kernel info:
; codeLenInByte = 0
; TotalNumSgprs: 4
; NumVgprs: 0
; ScratchSize: 0
; MemoryBound: 0
; FloatMode: 240
; IeeeMode: 1
; LDSByteSize: 0 bytes/workgroup (compile time only)
; SGPRBlocks: 0
; VGPRBlocks: 0
; NumSGPRsForWavesPerEU: 4
; NumVGPRsForWavesPerEU: 1
; Occupancy: 10
; WaveLimiterHint : 0
; COMPUTE_PGM_RSRC2:SCRATCH_EN: 0
; COMPUTE_PGM_RSRC2:USER_SGPR: 6
; COMPUTE_PGM_RSRC2:TRAP_HANDLER: 0
; COMPUTE_PGM_RSRC2:TGID_X_EN: 1
; COMPUTE_PGM_RSRC2:TGID_Y_EN: 0
; COMPUTE_PGM_RSRC2:TGID_Z_EN: 0
; COMPUTE_PGM_RSRC2:TIDIG_COMP_CNT: 0
	.section	.text._ZN7rocprim17ROCPRIM_400000_NS6detail17trampoline_kernelINS0_14default_configENS1_22reduce_config_selectorIN6thrust23THRUST_200600_302600_NS5tupleIbffNS6_9null_typeES8_S8_S8_S8_S8_S8_EEEEZNS1_11reduce_implILb1ES3_PS9_SC_S9_12reduce_tupleIifEEE10hipError_tPvRmT1_T2_T3_mT4_P12ihipStream_tbEUlT_E1_NS1_11comp_targetILNS1_3genE0ELNS1_11target_archE4294967295ELNS1_3gpuE0ELNS1_3repE0EEENS1_30default_config_static_selectorELNS0_4arch9wavefront6targetE1EEEvSI_,"axG",@progbits,_ZN7rocprim17ROCPRIM_400000_NS6detail17trampoline_kernelINS0_14default_configENS1_22reduce_config_selectorIN6thrust23THRUST_200600_302600_NS5tupleIbffNS6_9null_typeES8_S8_S8_S8_S8_S8_EEEEZNS1_11reduce_implILb1ES3_PS9_SC_S9_12reduce_tupleIifEEE10hipError_tPvRmT1_T2_T3_mT4_P12ihipStream_tbEUlT_E1_NS1_11comp_targetILNS1_3genE0ELNS1_11target_archE4294967295ELNS1_3gpuE0ELNS1_3repE0EEENS1_30default_config_static_selectorELNS0_4arch9wavefront6targetE1EEEvSI_,comdat
	.protected	_ZN7rocprim17ROCPRIM_400000_NS6detail17trampoline_kernelINS0_14default_configENS1_22reduce_config_selectorIN6thrust23THRUST_200600_302600_NS5tupleIbffNS6_9null_typeES8_S8_S8_S8_S8_S8_EEEEZNS1_11reduce_implILb1ES3_PS9_SC_S9_12reduce_tupleIifEEE10hipError_tPvRmT1_T2_T3_mT4_P12ihipStream_tbEUlT_E1_NS1_11comp_targetILNS1_3genE0ELNS1_11target_archE4294967295ELNS1_3gpuE0ELNS1_3repE0EEENS1_30default_config_static_selectorELNS0_4arch9wavefront6targetE1EEEvSI_ ; -- Begin function _ZN7rocprim17ROCPRIM_400000_NS6detail17trampoline_kernelINS0_14default_configENS1_22reduce_config_selectorIN6thrust23THRUST_200600_302600_NS5tupleIbffNS6_9null_typeES8_S8_S8_S8_S8_S8_EEEEZNS1_11reduce_implILb1ES3_PS9_SC_S9_12reduce_tupleIifEEE10hipError_tPvRmT1_T2_T3_mT4_P12ihipStream_tbEUlT_E1_NS1_11comp_targetILNS1_3genE0ELNS1_11target_archE4294967295ELNS1_3gpuE0ELNS1_3repE0EEENS1_30default_config_static_selectorELNS0_4arch9wavefront6targetE1EEEvSI_
	.globl	_ZN7rocprim17ROCPRIM_400000_NS6detail17trampoline_kernelINS0_14default_configENS1_22reduce_config_selectorIN6thrust23THRUST_200600_302600_NS5tupleIbffNS6_9null_typeES8_S8_S8_S8_S8_S8_EEEEZNS1_11reduce_implILb1ES3_PS9_SC_S9_12reduce_tupleIifEEE10hipError_tPvRmT1_T2_T3_mT4_P12ihipStream_tbEUlT_E1_NS1_11comp_targetILNS1_3genE0ELNS1_11target_archE4294967295ELNS1_3gpuE0ELNS1_3repE0EEENS1_30default_config_static_selectorELNS0_4arch9wavefront6targetE1EEEvSI_
	.p2align	8
	.type	_ZN7rocprim17ROCPRIM_400000_NS6detail17trampoline_kernelINS0_14default_configENS1_22reduce_config_selectorIN6thrust23THRUST_200600_302600_NS5tupleIbffNS6_9null_typeES8_S8_S8_S8_S8_S8_EEEEZNS1_11reduce_implILb1ES3_PS9_SC_S9_12reduce_tupleIifEEE10hipError_tPvRmT1_T2_T3_mT4_P12ihipStream_tbEUlT_E1_NS1_11comp_targetILNS1_3genE0ELNS1_11target_archE4294967295ELNS1_3gpuE0ELNS1_3repE0EEENS1_30default_config_static_selectorELNS0_4arch9wavefront6targetE1EEEvSI_,@function
_ZN7rocprim17ROCPRIM_400000_NS6detail17trampoline_kernelINS0_14default_configENS1_22reduce_config_selectorIN6thrust23THRUST_200600_302600_NS5tupleIbffNS6_9null_typeES8_S8_S8_S8_S8_S8_EEEEZNS1_11reduce_implILb1ES3_PS9_SC_S9_12reduce_tupleIifEEE10hipError_tPvRmT1_T2_T3_mT4_P12ihipStream_tbEUlT_E1_NS1_11comp_targetILNS1_3genE0ELNS1_11target_archE4294967295ELNS1_3gpuE0ELNS1_3repE0EEENS1_30default_config_static_selectorELNS0_4arch9wavefront6targetE1EEEvSI_: ; @_ZN7rocprim17ROCPRIM_400000_NS6detail17trampoline_kernelINS0_14default_configENS1_22reduce_config_selectorIN6thrust23THRUST_200600_302600_NS5tupleIbffNS6_9null_typeES8_S8_S8_S8_S8_S8_EEEEZNS1_11reduce_implILb1ES3_PS9_SC_S9_12reduce_tupleIifEEE10hipError_tPvRmT1_T2_T3_mT4_P12ihipStream_tbEUlT_E1_NS1_11comp_targetILNS1_3genE0ELNS1_11target_archE4294967295ELNS1_3gpuE0ELNS1_3repE0EEENS1_30default_config_static_selectorELNS0_4arch9wavefront6targetE1EEEvSI_
; %bb.0:
	.section	.rodata,"a",@progbits
	.p2align	6, 0x0
	.amdhsa_kernel _ZN7rocprim17ROCPRIM_400000_NS6detail17trampoline_kernelINS0_14default_configENS1_22reduce_config_selectorIN6thrust23THRUST_200600_302600_NS5tupleIbffNS6_9null_typeES8_S8_S8_S8_S8_S8_EEEEZNS1_11reduce_implILb1ES3_PS9_SC_S9_12reduce_tupleIifEEE10hipError_tPvRmT1_T2_T3_mT4_P12ihipStream_tbEUlT_E1_NS1_11comp_targetILNS1_3genE0ELNS1_11target_archE4294967295ELNS1_3gpuE0ELNS1_3repE0EEENS1_30default_config_static_selectorELNS0_4arch9wavefront6targetE1EEEvSI_
		.amdhsa_group_segment_fixed_size 0
		.amdhsa_private_segment_fixed_size 0
		.amdhsa_kernarg_size 48
		.amdhsa_user_sgpr_count 6
		.amdhsa_user_sgpr_private_segment_buffer 1
		.amdhsa_user_sgpr_dispatch_ptr 0
		.amdhsa_user_sgpr_queue_ptr 0
		.amdhsa_user_sgpr_kernarg_segment_ptr 1
		.amdhsa_user_sgpr_dispatch_id 0
		.amdhsa_user_sgpr_flat_scratch_init 0
		.amdhsa_user_sgpr_private_segment_size 0
		.amdhsa_uses_dynamic_stack 0
		.amdhsa_system_sgpr_private_segment_wavefront_offset 0
		.amdhsa_system_sgpr_workgroup_id_x 1
		.amdhsa_system_sgpr_workgroup_id_y 0
		.amdhsa_system_sgpr_workgroup_id_z 0
		.amdhsa_system_sgpr_workgroup_info 0
		.amdhsa_system_vgpr_workitem_id 0
		.amdhsa_next_free_vgpr 1
		.amdhsa_next_free_sgpr 0
		.amdhsa_reserve_vcc 0
		.amdhsa_reserve_flat_scratch 0
		.amdhsa_float_round_mode_32 0
		.amdhsa_float_round_mode_16_64 0
		.amdhsa_float_denorm_mode_32 3
		.amdhsa_float_denorm_mode_16_64 3
		.amdhsa_dx10_clamp 1
		.amdhsa_ieee_mode 1
		.amdhsa_fp16_overflow 0
		.amdhsa_exception_fp_ieee_invalid_op 0
		.amdhsa_exception_fp_denorm_src 0
		.amdhsa_exception_fp_ieee_div_zero 0
		.amdhsa_exception_fp_ieee_overflow 0
		.amdhsa_exception_fp_ieee_underflow 0
		.amdhsa_exception_fp_ieee_inexact 0
		.amdhsa_exception_int_div_zero 0
	.end_amdhsa_kernel
	.section	.text._ZN7rocprim17ROCPRIM_400000_NS6detail17trampoline_kernelINS0_14default_configENS1_22reduce_config_selectorIN6thrust23THRUST_200600_302600_NS5tupleIbffNS6_9null_typeES8_S8_S8_S8_S8_S8_EEEEZNS1_11reduce_implILb1ES3_PS9_SC_S9_12reduce_tupleIifEEE10hipError_tPvRmT1_T2_T3_mT4_P12ihipStream_tbEUlT_E1_NS1_11comp_targetILNS1_3genE0ELNS1_11target_archE4294967295ELNS1_3gpuE0ELNS1_3repE0EEENS1_30default_config_static_selectorELNS0_4arch9wavefront6targetE1EEEvSI_,"axG",@progbits,_ZN7rocprim17ROCPRIM_400000_NS6detail17trampoline_kernelINS0_14default_configENS1_22reduce_config_selectorIN6thrust23THRUST_200600_302600_NS5tupleIbffNS6_9null_typeES8_S8_S8_S8_S8_S8_EEEEZNS1_11reduce_implILb1ES3_PS9_SC_S9_12reduce_tupleIifEEE10hipError_tPvRmT1_T2_T3_mT4_P12ihipStream_tbEUlT_E1_NS1_11comp_targetILNS1_3genE0ELNS1_11target_archE4294967295ELNS1_3gpuE0ELNS1_3repE0EEENS1_30default_config_static_selectorELNS0_4arch9wavefront6targetE1EEEvSI_,comdat
.Lfunc_end10:
	.size	_ZN7rocprim17ROCPRIM_400000_NS6detail17trampoline_kernelINS0_14default_configENS1_22reduce_config_selectorIN6thrust23THRUST_200600_302600_NS5tupleIbffNS6_9null_typeES8_S8_S8_S8_S8_S8_EEEEZNS1_11reduce_implILb1ES3_PS9_SC_S9_12reduce_tupleIifEEE10hipError_tPvRmT1_T2_T3_mT4_P12ihipStream_tbEUlT_E1_NS1_11comp_targetILNS1_3genE0ELNS1_11target_archE4294967295ELNS1_3gpuE0ELNS1_3repE0EEENS1_30default_config_static_selectorELNS0_4arch9wavefront6targetE1EEEvSI_, .Lfunc_end10-_ZN7rocprim17ROCPRIM_400000_NS6detail17trampoline_kernelINS0_14default_configENS1_22reduce_config_selectorIN6thrust23THRUST_200600_302600_NS5tupleIbffNS6_9null_typeES8_S8_S8_S8_S8_S8_EEEEZNS1_11reduce_implILb1ES3_PS9_SC_S9_12reduce_tupleIifEEE10hipError_tPvRmT1_T2_T3_mT4_P12ihipStream_tbEUlT_E1_NS1_11comp_targetILNS1_3genE0ELNS1_11target_archE4294967295ELNS1_3gpuE0ELNS1_3repE0EEENS1_30default_config_static_selectorELNS0_4arch9wavefront6targetE1EEEvSI_
                                        ; -- End function
	.set _ZN7rocprim17ROCPRIM_400000_NS6detail17trampoline_kernelINS0_14default_configENS1_22reduce_config_selectorIN6thrust23THRUST_200600_302600_NS5tupleIbffNS6_9null_typeES8_S8_S8_S8_S8_S8_EEEEZNS1_11reduce_implILb1ES3_PS9_SC_S9_12reduce_tupleIifEEE10hipError_tPvRmT1_T2_T3_mT4_P12ihipStream_tbEUlT_E1_NS1_11comp_targetILNS1_3genE0ELNS1_11target_archE4294967295ELNS1_3gpuE0ELNS1_3repE0EEENS1_30default_config_static_selectorELNS0_4arch9wavefront6targetE1EEEvSI_.num_vgpr, 0
	.set _ZN7rocprim17ROCPRIM_400000_NS6detail17trampoline_kernelINS0_14default_configENS1_22reduce_config_selectorIN6thrust23THRUST_200600_302600_NS5tupleIbffNS6_9null_typeES8_S8_S8_S8_S8_S8_EEEEZNS1_11reduce_implILb1ES3_PS9_SC_S9_12reduce_tupleIifEEE10hipError_tPvRmT1_T2_T3_mT4_P12ihipStream_tbEUlT_E1_NS1_11comp_targetILNS1_3genE0ELNS1_11target_archE4294967295ELNS1_3gpuE0ELNS1_3repE0EEENS1_30default_config_static_selectorELNS0_4arch9wavefront6targetE1EEEvSI_.num_agpr, 0
	.set _ZN7rocprim17ROCPRIM_400000_NS6detail17trampoline_kernelINS0_14default_configENS1_22reduce_config_selectorIN6thrust23THRUST_200600_302600_NS5tupleIbffNS6_9null_typeES8_S8_S8_S8_S8_S8_EEEEZNS1_11reduce_implILb1ES3_PS9_SC_S9_12reduce_tupleIifEEE10hipError_tPvRmT1_T2_T3_mT4_P12ihipStream_tbEUlT_E1_NS1_11comp_targetILNS1_3genE0ELNS1_11target_archE4294967295ELNS1_3gpuE0ELNS1_3repE0EEENS1_30default_config_static_selectorELNS0_4arch9wavefront6targetE1EEEvSI_.numbered_sgpr, 0
	.set _ZN7rocprim17ROCPRIM_400000_NS6detail17trampoline_kernelINS0_14default_configENS1_22reduce_config_selectorIN6thrust23THRUST_200600_302600_NS5tupleIbffNS6_9null_typeES8_S8_S8_S8_S8_S8_EEEEZNS1_11reduce_implILb1ES3_PS9_SC_S9_12reduce_tupleIifEEE10hipError_tPvRmT1_T2_T3_mT4_P12ihipStream_tbEUlT_E1_NS1_11comp_targetILNS1_3genE0ELNS1_11target_archE4294967295ELNS1_3gpuE0ELNS1_3repE0EEENS1_30default_config_static_selectorELNS0_4arch9wavefront6targetE1EEEvSI_.num_named_barrier, 0
	.set _ZN7rocprim17ROCPRIM_400000_NS6detail17trampoline_kernelINS0_14default_configENS1_22reduce_config_selectorIN6thrust23THRUST_200600_302600_NS5tupleIbffNS6_9null_typeES8_S8_S8_S8_S8_S8_EEEEZNS1_11reduce_implILb1ES3_PS9_SC_S9_12reduce_tupleIifEEE10hipError_tPvRmT1_T2_T3_mT4_P12ihipStream_tbEUlT_E1_NS1_11comp_targetILNS1_3genE0ELNS1_11target_archE4294967295ELNS1_3gpuE0ELNS1_3repE0EEENS1_30default_config_static_selectorELNS0_4arch9wavefront6targetE1EEEvSI_.private_seg_size, 0
	.set _ZN7rocprim17ROCPRIM_400000_NS6detail17trampoline_kernelINS0_14default_configENS1_22reduce_config_selectorIN6thrust23THRUST_200600_302600_NS5tupleIbffNS6_9null_typeES8_S8_S8_S8_S8_S8_EEEEZNS1_11reduce_implILb1ES3_PS9_SC_S9_12reduce_tupleIifEEE10hipError_tPvRmT1_T2_T3_mT4_P12ihipStream_tbEUlT_E1_NS1_11comp_targetILNS1_3genE0ELNS1_11target_archE4294967295ELNS1_3gpuE0ELNS1_3repE0EEENS1_30default_config_static_selectorELNS0_4arch9wavefront6targetE1EEEvSI_.uses_vcc, 0
	.set _ZN7rocprim17ROCPRIM_400000_NS6detail17trampoline_kernelINS0_14default_configENS1_22reduce_config_selectorIN6thrust23THRUST_200600_302600_NS5tupleIbffNS6_9null_typeES8_S8_S8_S8_S8_S8_EEEEZNS1_11reduce_implILb1ES3_PS9_SC_S9_12reduce_tupleIifEEE10hipError_tPvRmT1_T2_T3_mT4_P12ihipStream_tbEUlT_E1_NS1_11comp_targetILNS1_3genE0ELNS1_11target_archE4294967295ELNS1_3gpuE0ELNS1_3repE0EEENS1_30default_config_static_selectorELNS0_4arch9wavefront6targetE1EEEvSI_.uses_flat_scratch, 0
	.set _ZN7rocprim17ROCPRIM_400000_NS6detail17trampoline_kernelINS0_14default_configENS1_22reduce_config_selectorIN6thrust23THRUST_200600_302600_NS5tupleIbffNS6_9null_typeES8_S8_S8_S8_S8_S8_EEEEZNS1_11reduce_implILb1ES3_PS9_SC_S9_12reduce_tupleIifEEE10hipError_tPvRmT1_T2_T3_mT4_P12ihipStream_tbEUlT_E1_NS1_11comp_targetILNS1_3genE0ELNS1_11target_archE4294967295ELNS1_3gpuE0ELNS1_3repE0EEENS1_30default_config_static_selectorELNS0_4arch9wavefront6targetE1EEEvSI_.has_dyn_sized_stack, 0
	.set _ZN7rocprim17ROCPRIM_400000_NS6detail17trampoline_kernelINS0_14default_configENS1_22reduce_config_selectorIN6thrust23THRUST_200600_302600_NS5tupleIbffNS6_9null_typeES8_S8_S8_S8_S8_S8_EEEEZNS1_11reduce_implILb1ES3_PS9_SC_S9_12reduce_tupleIifEEE10hipError_tPvRmT1_T2_T3_mT4_P12ihipStream_tbEUlT_E1_NS1_11comp_targetILNS1_3genE0ELNS1_11target_archE4294967295ELNS1_3gpuE0ELNS1_3repE0EEENS1_30default_config_static_selectorELNS0_4arch9wavefront6targetE1EEEvSI_.has_recursion, 0
	.set _ZN7rocprim17ROCPRIM_400000_NS6detail17trampoline_kernelINS0_14default_configENS1_22reduce_config_selectorIN6thrust23THRUST_200600_302600_NS5tupleIbffNS6_9null_typeES8_S8_S8_S8_S8_S8_EEEEZNS1_11reduce_implILb1ES3_PS9_SC_S9_12reduce_tupleIifEEE10hipError_tPvRmT1_T2_T3_mT4_P12ihipStream_tbEUlT_E1_NS1_11comp_targetILNS1_3genE0ELNS1_11target_archE4294967295ELNS1_3gpuE0ELNS1_3repE0EEENS1_30default_config_static_selectorELNS0_4arch9wavefront6targetE1EEEvSI_.has_indirect_call, 0
	.section	.AMDGPU.csdata,"",@progbits
; Kernel info:
; codeLenInByte = 0
; TotalNumSgprs: 4
; NumVgprs: 0
; ScratchSize: 0
; MemoryBound: 0
; FloatMode: 240
; IeeeMode: 1
; LDSByteSize: 0 bytes/workgroup (compile time only)
; SGPRBlocks: 0
; VGPRBlocks: 0
; NumSGPRsForWavesPerEU: 4
; NumVGPRsForWavesPerEU: 1
; Occupancy: 10
; WaveLimiterHint : 0
; COMPUTE_PGM_RSRC2:SCRATCH_EN: 0
; COMPUTE_PGM_RSRC2:USER_SGPR: 6
; COMPUTE_PGM_RSRC2:TRAP_HANDLER: 0
; COMPUTE_PGM_RSRC2:TGID_X_EN: 1
; COMPUTE_PGM_RSRC2:TGID_Y_EN: 0
; COMPUTE_PGM_RSRC2:TGID_Z_EN: 0
; COMPUTE_PGM_RSRC2:TIDIG_COMP_CNT: 0
	.section	.text._ZN7rocprim17ROCPRIM_400000_NS6detail17trampoline_kernelINS0_14default_configENS1_22reduce_config_selectorIN6thrust23THRUST_200600_302600_NS5tupleIbffNS6_9null_typeES8_S8_S8_S8_S8_S8_EEEEZNS1_11reduce_implILb1ES3_PS9_SC_S9_12reduce_tupleIifEEE10hipError_tPvRmT1_T2_T3_mT4_P12ihipStream_tbEUlT_E1_NS1_11comp_targetILNS1_3genE5ELNS1_11target_archE942ELNS1_3gpuE9ELNS1_3repE0EEENS1_30default_config_static_selectorELNS0_4arch9wavefront6targetE1EEEvSI_,"axG",@progbits,_ZN7rocprim17ROCPRIM_400000_NS6detail17trampoline_kernelINS0_14default_configENS1_22reduce_config_selectorIN6thrust23THRUST_200600_302600_NS5tupleIbffNS6_9null_typeES8_S8_S8_S8_S8_S8_EEEEZNS1_11reduce_implILb1ES3_PS9_SC_S9_12reduce_tupleIifEEE10hipError_tPvRmT1_T2_T3_mT4_P12ihipStream_tbEUlT_E1_NS1_11comp_targetILNS1_3genE5ELNS1_11target_archE942ELNS1_3gpuE9ELNS1_3repE0EEENS1_30default_config_static_selectorELNS0_4arch9wavefront6targetE1EEEvSI_,comdat
	.protected	_ZN7rocprim17ROCPRIM_400000_NS6detail17trampoline_kernelINS0_14default_configENS1_22reduce_config_selectorIN6thrust23THRUST_200600_302600_NS5tupleIbffNS6_9null_typeES8_S8_S8_S8_S8_S8_EEEEZNS1_11reduce_implILb1ES3_PS9_SC_S9_12reduce_tupleIifEEE10hipError_tPvRmT1_T2_T3_mT4_P12ihipStream_tbEUlT_E1_NS1_11comp_targetILNS1_3genE5ELNS1_11target_archE942ELNS1_3gpuE9ELNS1_3repE0EEENS1_30default_config_static_selectorELNS0_4arch9wavefront6targetE1EEEvSI_ ; -- Begin function _ZN7rocprim17ROCPRIM_400000_NS6detail17trampoline_kernelINS0_14default_configENS1_22reduce_config_selectorIN6thrust23THRUST_200600_302600_NS5tupleIbffNS6_9null_typeES8_S8_S8_S8_S8_S8_EEEEZNS1_11reduce_implILb1ES3_PS9_SC_S9_12reduce_tupleIifEEE10hipError_tPvRmT1_T2_T3_mT4_P12ihipStream_tbEUlT_E1_NS1_11comp_targetILNS1_3genE5ELNS1_11target_archE942ELNS1_3gpuE9ELNS1_3repE0EEENS1_30default_config_static_selectorELNS0_4arch9wavefront6targetE1EEEvSI_
	.globl	_ZN7rocprim17ROCPRIM_400000_NS6detail17trampoline_kernelINS0_14default_configENS1_22reduce_config_selectorIN6thrust23THRUST_200600_302600_NS5tupleIbffNS6_9null_typeES8_S8_S8_S8_S8_S8_EEEEZNS1_11reduce_implILb1ES3_PS9_SC_S9_12reduce_tupleIifEEE10hipError_tPvRmT1_T2_T3_mT4_P12ihipStream_tbEUlT_E1_NS1_11comp_targetILNS1_3genE5ELNS1_11target_archE942ELNS1_3gpuE9ELNS1_3repE0EEENS1_30default_config_static_selectorELNS0_4arch9wavefront6targetE1EEEvSI_
	.p2align	8
	.type	_ZN7rocprim17ROCPRIM_400000_NS6detail17trampoline_kernelINS0_14default_configENS1_22reduce_config_selectorIN6thrust23THRUST_200600_302600_NS5tupleIbffNS6_9null_typeES8_S8_S8_S8_S8_S8_EEEEZNS1_11reduce_implILb1ES3_PS9_SC_S9_12reduce_tupleIifEEE10hipError_tPvRmT1_T2_T3_mT4_P12ihipStream_tbEUlT_E1_NS1_11comp_targetILNS1_3genE5ELNS1_11target_archE942ELNS1_3gpuE9ELNS1_3repE0EEENS1_30default_config_static_selectorELNS0_4arch9wavefront6targetE1EEEvSI_,@function
_ZN7rocprim17ROCPRIM_400000_NS6detail17trampoline_kernelINS0_14default_configENS1_22reduce_config_selectorIN6thrust23THRUST_200600_302600_NS5tupleIbffNS6_9null_typeES8_S8_S8_S8_S8_S8_EEEEZNS1_11reduce_implILb1ES3_PS9_SC_S9_12reduce_tupleIifEEE10hipError_tPvRmT1_T2_T3_mT4_P12ihipStream_tbEUlT_E1_NS1_11comp_targetILNS1_3genE5ELNS1_11target_archE942ELNS1_3gpuE9ELNS1_3repE0EEENS1_30default_config_static_selectorELNS0_4arch9wavefront6targetE1EEEvSI_: ; @_ZN7rocprim17ROCPRIM_400000_NS6detail17trampoline_kernelINS0_14default_configENS1_22reduce_config_selectorIN6thrust23THRUST_200600_302600_NS5tupleIbffNS6_9null_typeES8_S8_S8_S8_S8_S8_EEEEZNS1_11reduce_implILb1ES3_PS9_SC_S9_12reduce_tupleIifEEE10hipError_tPvRmT1_T2_T3_mT4_P12ihipStream_tbEUlT_E1_NS1_11comp_targetILNS1_3genE5ELNS1_11target_archE942ELNS1_3gpuE9ELNS1_3repE0EEENS1_30default_config_static_selectorELNS0_4arch9wavefront6targetE1EEEvSI_
; %bb.0:
	.section	.rodata,"a",@progbits
	.p2align	6, 0x0
	.amdhsa_kernel _ZN7rocprim17ROCPRIM_400000_NS6detail17trampoline_kernelINS0_14default_configENS1_22reduce_config_selectorIN6thrust23THRUST_200600_302600_NS5tupleIbffNS6_9null_typeES8_S8_S8_S8_S8_S8_EEEEZNS1_11reduce_implILb1ES3_PS9_SC_S9_12reduce_tupleIifEEE10hipError_tPvRmT1_T2_T3_mT4_P12ihipStream_tbEUlT_E1_NS1_11comp_targetILNS1_3genE5ELNS1_11target_archE942ELNS1_3gpuE9ELNS1_3repE0EEENS1_30default_config_static_selectorELNS0_4arch9wavefront6targetE1EEEvSI_
		.amdhsa_group_segment_fixed_size 0
		.amdhsa_private_segment_fixed_size 0
		.amdhsa_kernarg_size 48
		.amdhsa_user_sgpr_count 6
		.amdhsa_user_sgpr_private_segment_buffer 1
		.amdhsa_user_sgpr_dispatch_ptr 0
		.amdhsa_user_sgpr_queue_ptr 0
		.amdhsa_user_sgpr_kernarg_segment_ptr 1
		.amdhsa_user_sgpr_dispatch_id 0
		.amdhsa_user_sgpr_flat_scratch_init 0
		.amdhsa_user_sgpr_private_segment_size 0
		.amdhsa_uses_dynamic_stack 0
		.amdhsa_system_sgpr_private_segment_wavefront_offset 0
		.amdhsa_system_sgpr_workgroup_id_x 1
		.amdhsa_system_sgpr_workgroup_id_y 0
		.amdhsa_system_sgpr_workgroup_id_z 0
		.amdhsa_system_sgpr_workgroup_info 0
		.amdhsa_system_vgpr_workitem_id 0
		.amdhsa_next_free_vgpr 1
		.amdhsa_next_free_sgpr 0
		.amdhsa_reserve_vcc 0
		.amdhsa_reserve_flat_scratch 0
		.amdhsa_float_round_mode_32 0
		.amdhsa_float_round_mode_16_64 0
		.amdhsa_float_denorm_mode_32 3
		.amdhsa_float_denorm_mode_16_64 3
		.amdhsa_dx10_clamp 1
		.amdhsa_ieee_mode 1
		.amdhsa_fp16_overflow 0
		.amdhsa_exception_fp_ieee_invalid_op 0
		.amdhsa_exception_fp_denorm_src 0
		.amdhsa_exception_fp_ieee_div_zero 0
		.amdhsa_exception_fp_ieee_overflow 0
		.amdhsa_exception_fp_ieee_underflow 0
		.amdhsa_exception_fp_ieee_inexact 0
		.amdhsa_exception_int_div_zero 0
	.end_amdhsa_kernel
	.section	.text._ZN7rocprim17ROCPRIM_400000_NS6detail17trampoline_kernelINS0_14default_configENS1_22reduce_config_selectorIN6thrust23THRUST_200600_302600_NS5tupleIbffNS6_9null_typeES8_S8_S8_S8_S8_S8_EEEEZNS1_11reduce_implILb1ES3_PS9_SC_S9_12reduce_tupleIifEEE10hipError_tPvRmT1_T2_T3_mT4_P12ihipStream_tbEUlT_E1_NS1_11comp_targetILNS1_3genE5ELNS1_11target_archE942ELNS1_3gpuE9ELNS1_3repE0EEENS1_30default_config_static_selectorELNS0_4arch9wavefront6targetE1EEEvSI_,"axG",@progbits,_ZN7rocprim17ROCPRIM_400000_NS6detail17trampoline_kernelINS0_14default_configENS1_22reduce_config_selectorIN6thrust23THRUST_200600_302600_NS5tupleIbffNS6_9null_typeES8_S8_S8_S8_S8_S8_EEEEZNS1_11reduce_implILb1ES3_PS9_SC_S9_12reduce_tupleIifEEE10hipError_tPvRmT1_T2_T3_mT4_P12ihipStream_tbEUlT_E1_NS1_11comp_targetILNS1_3genE5ELNS1_11target_archE942ELNS1_3gpuE9ELNS1_3repE0EEENS1_30default_config_static_selectorELNS0_4arch9wavefront6targetE1EEEvSI_,comdat
.Lfunc_end11:
	.size	_ZN7rocprim17ROCPRIM_400000_NS6detail17trampoline_kernelINS0_14default_configENS1_22reduce_config_selectorIN6thrust23THRUST_200600_302600_NS5tupleIbffNS6_9null_typeES8_S8_S8_S8_S8_S8_EEEEZNS1_11reduce_implILb1ES3_PS9_SC_S9_12reduce_tupleIifEEE10hipError_tPvRmT1_T2_T3_mT4_P12ihipStream_tbEUlT_E1_NS1_11comp_targetILNS1_3genE5ELNS1_11target_archE942ELNS1_3gpuE9ELNS1_3repE0EEENS1_30default_config_static_selectorELNS0_4arch9wavefront6targetE1EEEvSI_, .Lfunc_end11-_ZN7rocprim17ROCPRIM_400000_NS6detail17trampoline_kernelINS0_14default_configENS1_22reduce_config_selectorIN6thrust23THRUST_200600_302600_NS5tupleIbffNS6_9null_typeES8_S8_S8_S8_S8_S8_EEEEZNS1_11reduce_implILb1ES3_PS9_SC_S9_12reduce_tupleIifEEE10hipError_tPvRmT1_T2_T3_mT4_P12ihipStream_tbEUlT_E1_NS1_11comp_targetILNS1_3genE5ELNS1_11target_archE942ELNS1_3gpuE9ELNS1_3repE0EEENS1_30default_config_static_selectorELNS0_4arch9wavefront6targetE1EEEvSI_
                                        ; -- End function
	.set _ZN7rocprim17ROCPRIM_400000_NS6detail17trampoline_kernelINS0_14default_configENS1_22reduce_config_selectorIN6thrust23THRUST_200600_302600_NS5tupleIbffNS6_9null_typeES8_S8_S8_S8_S8_S8_EEEEZNS1_11reduce_implILb1ES3_PS9_SC_S9_12reduce_tupleIifEEE10hipError_tPvRmT1_T2_T3_mT4_P12ihipStream_tbEUlT_E1_NS1_11comp_targetILNS1_3genE5ELNS1_11target_archE942ELNS1_3gpuE9ELNS1_3repE0EEENS1_30default_config_static_selectorELNS0_4arch9wavefront6targetE1EEEvSI_.num_vgpr, 0
	.set _ZN7rocprim17ROCPRIM_400000_NS6detail17trampoline_kernelINS0_14default_configENS1_22reduce_config_selectorIN6thrust23THRUST_200600_302600_NS5tupleIbffNS6_9null_typeES8_S8_S8_S8_S8_S8_EEEEZNS1_11reduce_implILb1ES3_PS9_SC_S9_12reduce_tupleIifEEE10hipError_tPvRmT1_T2_T3_mT4_P12ihipStream_tbEUlT_E1_NS1_11comp_targetILNS1_3genE5ELNS1_11target_archE942ELNS1_3gpuE9ELNS1_3repE0EEENS1_30default_config_static_selectorELNS0_4arch9wavefront6targetE1EEEvSI_.num_agpr, 0
	.set _ZN7rocprim17ROCPRIM_400000_NS6detail17trampoline_kernelINS0_14default_configENS1_22reduce_config_selectorIN6thrust23THRUST_200600_302600_NS5tupleIbffNS6_9null_typeES8_S8_S8_S8_S8_S8_EEEEZNS1_11reduce_implILb1ES3_PS9_SC_S9_12reduce_tupleIifEEE10hipError_tPvRmT1_T2_T3_mT4_P12ihipStream_tbEUlT_E1_NS1_11comp_targetILNS1_3genE5ELNS1_11target_archE942ELNS1_3gpuE9ELNS1_3repE0EEENS1_30default_config_static_selectorELNS0_4arch9wavefront6targetE1EEEvSI_.numbered_sgpr, 0
	.set _ZN7rocprim17ROCPRIM_400000_NS6detail17trampoline_kernelINS0_14default_configENS1_22reduce_config_selectorIN6thrust23THRUST_200600_302600_NS5tupleIbffNS6_9null_typeES8_S8_S8_S8_S8_S8_EEEEZNS1_11reduce_implILb1ES3_PS9_SC_S9_12reduce_tupleIifEEE10hipError_tPvRmT1_T2_T3_mT4_P12ihipStream_tbEUlT_E1_NS1_11comp_targetILNS1_3genE5ELNS1_11target_archE942ELNS1_3gpuE9ELNS1_3repE0EEENS1_30default_config_static_selectorELNS0_4arch9wavefront6targetE1EEEvSI_.num_named_barrier, 0
	.set _ZN7rocprim17ROCPRIM_400000_NS6detail17trampoline_kernelINS0_14default_configENS1_22reduce_config_selectorIN6thrust23THRUST_200600_302600_NS5tupleIbffNS6_9null_typeES8_S8_S8_S8_S8_S8_EEEEZNS1_11reduce_implILb1ES3_PS9_SC_S9_12reduce_tupleIifEEE10hipError_tPvRmT1_T2_T3_mT4_P12ihipStream_tbEUlT_E1_NS1_11comp_targetILNS1_3genE5ELNS1_11target_archE942ELNS1_3gpuE9ELNS1_3repE0EEENS1_30default_config_static_selectorELNS0_4arch9wavefront6targetE1EEEvSI_.private_seg_size, 0
	.set _ZN7rocprim17ROCPRIM_400000_NS6detail17trampoline_kernelINS0_14default_configENS1_22reduce_config_selectorIN6thrust23THRUST_200600_302600_NS5tupleIbffNS6_9null_typeES8_S8_S8_S8_S8_S8_EEEEZNS1_11reduce_implILb1ES3_PS9_SC_S9_12reduce_tupleIifEEE10hipError_tPvRmT1_T2_T3_mT4_P12ihipStream_tbEUlT_E1_NS1_11comp_targetILNS1_3genE5ELNS1_11target_archE942ELNS1_3gpuE9ELNS1_3repE0EEENS1_30default_config_static_selectorELNS0_4arch9wavefront6targetE1EEEvSI_.uses_vcc, 0
	.set _ZN7rocprim17ROCPRIM_400000_NS6detail17trampoline_kernelINS0_14default_configENS1_22reduce_config_selectorIN6thrust23THRUST_200600_302600_NS5tupleIbffNS6_9null_typeES8_S8_S8_S8_S8_S8_EEEEZNS1_11reduce_implILb1ES3_PS9_SC_S9_12reduce_tupleIifEEE10hipError_tPvRmT1_T2_T3_mT4_P12ihipStream_tbEUlT_E1_NS1_11comp_targetILNS1_3genE5ELNS1_11target_archE942ELNS1_3gpuE9ELNS1_3repE0EEENS1_30default_config_static_selectorELNS0_4arch9wavefront6targetE1EEEvSI_.uses_flat_scratch, 0
	.set _ZN7rocprim17ROCPRIM_400000_NS6detail17trampoline_kernelINS0_14default_configENS1_22reduce_config_selectorIN6thrust23THRUST_200600_302600_NS5tupleIbffNS6_9null_typeES8_S8_S8_S8_S8_S8_EEEEZNS1_11reduce_implILb1ES3_PS9_SC_S9_12reduce_tupleIifEEE10hipError_tPvRmT1_T2_T3_mT4_P12ihipStream_tbEUlT_E1_NS1_11comp_targetILNS1_3genE5ELNS1_11target_archE942ELNS1_3gpuE9ELNS1_3repE0EEENS1_30default_config_static_selectorELNS0_4arch9wavefront6targetE1EEEvSI_.has_dyn_sized_stack, 0
	.set _ZN7rocprim17ROCPRIM_400000_NS6detail17trampoline_kernelINS0_14default_configENS1_22reduce_config_selectorIN6thrust23THRUST_200600_302600_NS5tupleIbffNS6_9null_typeES8_S8_S8_S8_S8_S8_EEEEZNS1_11reduce_implILb1ES3_PS9_SC_S9_12reduce_tupleIifEEE10hipError_tPvRmT1_T2_T3_mT4_P12ihipStream_tbEUlT_E1_NS1_11comp_targetILNS1_3genE5ELNS1_11target_archE942ELNS1_3gpuE9ELNS1_3repE0EEENS1_30default_config_static_selectorELNS0_4arch9wavefront6targetE1EEEvSI_.has_recursion, 0
	.set _ZN7rocprim17ROCPRIM_400000_NS6detail17trampoline_kernelINS0_14default_configENS1_22reduce_config_selectorIN6thrust23THRUST_200600_302600_NS5tupleIbffNS6_9null_typeES8_S8_S8_S8_S8_S8_EEEEZNS1_11reduce_implILb1ES3_PS9_SC_S9_12reduce_tupleIifEEE10hipError_tPvRmT1_T2_T3_mT4_P12ihipStream_tbEUlT_E1_NS1_11comp_targetILNS1_3genE5ELNS1_11target_archE942ELNS1_3gpuE9ELNS1_3repE0EEENS1_30default_config_static_selectorELNS0_4arch9wavefront6targetE1EEEvSI_.has_indirect_call, 0
	.section	.AMDGPU.csdata,"",@progbits
; Kernel info:
; codeLenInByte = 0
; TotalNumSgprs: 4
; NumVgprs: 0
; ScratchSize: 0
; MemoryBound: 0
; FloatMode: 240
; IeeeMode: 1
; LDSByteSize: 0 bytes/workgroup (compile time only)
; SGPRBlocks: 0
; VGPRBlocks: 0
; NumSGPRsForWavesPerEU: 4
; NumVGPRsForWavesPerEU: 1
; Occupancy: 10
; WaveLimiterHint : 0
; COMPUTE_PGM_RSRC2:SCRATCH_EN: 0
; COMPUTE_PGM_RSRC2:USER_SGPR: 6
; COMPUTE_PGM_RSRC2:TRAP_HANDLER: 0
; COMPUTE_PGM_RSRC2:TGID_X_EN: 1
; COMPUTE_PGM_RSRC2:TGID_Y_EN: 0
; COMPUTE_PGM_RSRC2:TGID_Z_EN: 0
; COMPUTE_PGM_RSRC2:TIDIG_COMP_CNT: 0
	.section	.text._ZN7rocprim17ROCPRIM_400000_NS6detail17trampoline_kernelINS0_14default_configENS1_22reduce_config_selectorIN6thrust23THRUST_200600_302600_NS5tupleIbffNS6_9null_typeES8_S8_S8_S8_S8_S8_EEEEZNS1_11reduce_implILb1ES3_PS9_SC_S9_12reduce_tupleIifEEE10hipError_tPvRmT1_T2_T3_mT4_P12ihipStream_tbEUlT_E1_NS1_11comp_targetILNS1_3genE4ELNS1_11target_archE910ELNS1_3gpuE8ELNS1_3repE0EEENS1_30default_config_static_selectorELNS0_4arch9wavefront6targetE1EEEvSI_,"axG",@progbits,_ZN7rocprim17ROCPRIM_400000_NS6detail17trampoline_kernelINS0_14default_configENS1_22reduce_config_selectorIN6thrust23THRUST_200600_302600_NS5tupleIbffNS6_9null_typeES8_S8_S8_S8_S8_S8_EEEEZNS1_11reduce_implILb1ES3_PS9_SC_S9_12reduce_tupleIifEEE10hipError_tPvRmT1_T2_T3_mT4_P12ihipStream_tbEUlT_E1_NS1_11comp_targetILNS1_3genE4ELNS1_11target_archE910ELNS1_3gpuE8ELNS1_3repE0EEENS1_30default_config_static_selectorELNS0_4arch9wavefront6targetE1EEEvSI_,comdat
	.protected	_ZN7rocprim17ROCPRIM_400000_NS6detail17trampoline_kernelINS0_14default_configENS1_22reduce_config_selectorIN6thrust23THRUST_200600_302600_NS5tupleIbffNS6_9null_typeES8_S8_S8_S8_S8_S8_EEEEZNS1_11reduce_implILb1ES3_PS9_SC_S9_12reduce_tupleIifEEE10hipError_tPvRmT1_T2_T3_mT4_P12ihipStream_tbEUlT_E1_NS1_11comp_targetILNS1_3genE4ELNS1_11target_archE910ELNS1_3gpuE8ELNS1_3repE0EEENS1_30default_config_static_selectorELNS0_4arch9wavefront6targetE1EEEvSI_ ; -- Begin function _ZN7rocprim17ROCPRIM_400000_NS6detail17trampoline_kernelINS0_14default_configENS1_22reduce_config_selectorIN6thrust23THRUST_200600_302600_NS5tupleIbffNS6_9null_typeES8_S8_S8_S8_S8_S8_EEEEZNS1_11reduce_implILb1ES3_PS9_SC_S9_12reduce_tupleIifEEE10hipError_tPvRmT1_T2_T3_mT4_P12ihipStream_tbEUlT_E1_NS1_11comp_targetILNS1_3genE4ELNS1_11target_archE910ELNS1_3gpuE8ELNS1_3repE0EEENS1_30default_config_static_selectorELNS0_4arch9wavefront6targetE1EEEvSI_
	.globl	_ZN7rocprim17ROCPRIM_400000_NS6detail17trampoline_kernelINS0_14default_configENS1_22reduce_config_selectorIN6thrust23THRUST_200600_302600_NS5tupleIbffNS6_9null_typeES8_S8_S8_S8_S8_S8_EEEEZNS1_11reduce_implILb1ES3_PS9_SC_S9_12reduce_tupleIifEEE10hipError_tPvRmT1_T2_T3_mT4_P12ihipStream_tbEUlT_E1_NS1_11comp_targetILNS1_3genE4ELNS1_11target_archE910ELNS1_3gpuE8ELNS1_3repE0EEENS1_30default_config_static_selectorELNS0_4arch9wavefront6targetE1EEEvSI_
	.p2align	8
	.type	_ZN7rocprim17ROCPRIM_400000_NS6detail17trampoline_kernelINS0_14default_configENS1_22reduce_config_selectorIN6thrust23THRUST_200600_302600_NS5tupleIbffNS6_9null_typeES8_S8_S8_S8_S8_S8_EEEEZNS1_11reduce_implILb1ES3_PS9_SC_S9_12reduce_tupleIifEEE10hipError_tPvRmT1_T2_T3_mT4_P12ihipStream_tbEUlT_E1_NS1_11comp_targetILNS1_3genE4ELNS1_11target_archE910ELNS1_3gpuE8ELNS1_3repE0EEENS1_30default_config_static_selectorELNS0_4arch9wavefront6targetE1EEEvSI_,@function
_ZN7rocprim17ROCPRIM_400000_NS6detail17trampoline_kernelINS0_14default_configENS1_22reduce_config_selectorIN6thrust23THRUST_200600_302600_NS5tupleIbffNS6_9null_typeES8_S8_S8_S8_S8_S8_EEEEZNS1_11reduce_implILb1ES3_PS9_SC_S9_12reduce_tupleIifEEE10hipError_tPvRmT1_T2_T3_mT4_P12ihipStream_tbEUlT_E1_NS1_11comp_targetILNS1_3genE4ELNS1_11target_archE910ELNS1_3gpuE8ELNS1_3repE0EEENS1_30default_config_static_selectorELNS0_4arch9wavefront6targetE1EEEvSI_: ; @_ZN7rocprim17ROCPRIM_400000_NS6detail17trampoline_kernelINS0_14default_configENS1_22reduce_config_selectorIN6thrust23THRUST_200600_302600_NS5tupleIbffNS6_9null_typeES8_S8_S8_S8_S8_S8_EEEEZNS1_11reduce_implILb1ES3_PS9_SC_S9_12reduce_tupleIifEEE10hipError_tPvRmT1_T2_T3_mT4_P12ihipStream_tbEUlT_E1_NS1_11comp_targetILNS1_3genE4ELNS1_11target_archE910ELNS1_3gpuE8ELNS1_3repE0EEENS1_30default_config_static_selectorELNS0_4arch9wavefront6targetE1EEEvSI_
; %bb.0:
	.section	.rodata,"a",@progbits
	.p2align	6, 0x0
	.amdhsa_kernel _ZN7rocprim17ROCPRIM_400000_NS6detail17trampoline_kernelINS0_14default_configENS1_22reduce_config_selectorIN6thrust23THRUST_200600_302600_NS5tupleIbffNS6_9null_typeES8_S8_S8_S8_S8_S8_EEEEZNS1_11reduce_implILb1ES3_PS9_SC_S9_12reduce_tupleIifEEE10hipError_tPvRmT1_T2_T3_mT4_P12ihipStream_tbEUlT_E1_NS1_11comp_targetILNS1_3genE4ELNS1_11target_archE910ELNS1_3gpuE8ELNS1_3repE0EEENS1_30default_config_static_selectorELNS0_4arch9wavefront6targetE1EEEvSI_
		.amdhsa_group_segment_fixed_size 0
		.amdhsa_private_segment_fixed_size 0
		.amdhsa_kernarg_size 48
		.amdhsa_user_sgpr_count 6
		.amdhsa_user_sgpr_private_segment_buffer 1
		.amdhsa_user_sgpr_dispatch_ptr 0
		.amdhsa_user_sgpr_queue_ptr 0
		.amdhsa_user_sgpr_kernarg_segment_ptr 1
		.amdhsa_user_sgpr_dispatch_id 0
		.amdhsa_user_sgpr_flat_scratch_init 0
		.amdhsa_user_sgpr_private_segment_size 0
		.amdhsa_uses_dynamic_stack 0
		.amdhsa_system_sgpr_private_segment_wavefront_offset 0
		.amdhsa_system_sgpr_workgroup_id_x 1
		.amdhsa_system_sgpr_workgroup_id_y 0
		.amdhsa_system_sgpr_workgroup_id_z 0
		.amdhsa_system_sgpr_workgroup_info 0
		.amdhsa_system_vgpr_workitem_id 0
		.amdhsa_next_free_vgpr 1
		.amdhsa_next_free_sgpr 0
		.amdhsa_reserve_vcc 0
		.amdhsa_reserve_flat_scratch 0
		.amdhsa_float_round_mode_32 0
		.amdhsa_float_round_mode_16_64 0
		.amdhsa_float_denorm_mode_32 3
		.amdhsa_float_denorm_mode_16_64 3
		.amdhsa_dx10_clamp 1
		.amdhsa_ieee_mode 1
		.amdhsa_fp16_overflow 0
		.amdhsa_exception_fp_ieee_invalid_op 0
		.amdhsa_exception_fp_denorm_src 0
		.amdhsa_exception_fp_ieee_div_zero 0
		.amdhsa_exception_fp_ieee_overflow 0
		.amdhsa_exception_fp_ieee_underflow 0
		.amdhsa_exception_fp_ieee_inexact 0
		.amdhsa_exception_int_div_zero 0
	.end_amdhsa_kernel
	.section	.text._ZN7rocprim17ROCPRIM_400000_NS6detail17trampoline_kernelINS0_14default_configENS1_22reduce_config_selectorIN6thrust23THRUST_200600_302600_NS5tupleIbffNS6_9null_typeES8_S8_S8_S8_S8_S8_EEEEZNS1_11reduce_implILb1ES3_PS9_SC_S9_12reduce_tupleIifEEE10hipError_tPvRmT1_T2_T3_mT4_P12ihipStream_tbEUlT_E1_NS1_11comp_targetILNS1_3genE4ELNS1_11target_archE910ELNS1_3gpuE8ELNS1_3repE0EEENS1_30default_config_static_selectorELNS0_4arch9wavefront6targetE1EEEvSI_,"axG",@progbits,_ZN7rocprim17ROCPRIM_400000_NS6detail17trampoline_kernelINS0_14default_configENS1_22reduce_config_selectorIN6thrust23THRUST_200600_302600_NS5tupleIbffNS6_9null_typeES8_S8_S8_S8_S8_S8_EEEEZNS1_11reduce_implILb1ES3_PS9_SC_S9_12reduce_tupleIifEEE10hipError_tPvRmT1_T2_T3_mT4_P12ihipStream_tbEUlT_E1_NS1_11comp_targetILNS1_3genE4ELNS1_11target_archE910ELNS1_3gpuE8ELNS1_3repE0EEENS1_30default_config_static_selectorELNS0_4arch9wavefront6targetE1EEEvSI_,comdat
.Lfunc_end12:
	.size	_ZN7rocprim17ROCPRIM_400000_NS6detail17trampoline_kernelINS0_14default_configENS1_22reduce_config_selectorIN6thrust23THRUST_200600_302600_NS5tupleIbffNS6_9null_typeES8_S8_S8_S8_S8_S8_EEEEZNS1_11reduce_implILb1ES3_PS9_SC_S9_12reduce_tupleIifEEE10hipError_tPvRmT1_T2_T3_mT4_P12ihipStream_tbEUlT_E1_NS1_11comp_targetILNS1_3genE4ELNS1_11target_archE910ELNS1_3gpuE8ELNS1_3repE0EEENS1_30default_config_static_selectorELNS0_4arch9wavefront6targetE1EEEvSI_, .Lfunc_end12-_ZN7rocprim17ROCPRIM_400000_NS6detail17trampoline_kernelINS0_14default_configENS1_22reduce_config_selectorIN6thrust23THRUST_200600_302600_NS5tupleIbffNS6_9null_typeES8_S8_S8_S8_S8_S8_EEEEZNS1_11reduce_implILb1ES3_PS9_SC_S9_12reduce_tupleIifEEE10hipError_tPvRmT1_T2_T3_mT4_P12ihipStream_tbEUlT_E1_NS1_11comp_targetILNS1_3genE4ELNS1_11target_archE910ELNS1_3gpuE8ELNS1_3repE0EEENS1_30default_config_static_selectorELNS0_4arch9wavefront6targetE1EEEvSI_
                                        ; -- End function
	.set _ZN7rocprim17ROCPRIM_400000_NS6detail17trampoline_kernelINS0_14default_configENS1_22reduce_config_selectorIN6thrust23THRUST_200600_302600_NS5tupleIbffNS6_9null_typeES8_S8_S8_S8_S8_S8_EEEEZNS1_11reduce_implILb1ES3_PS9_SC_S9_12reduce_tupleIifEEE10hipError_tPvRmT1_T2_T3_mT4_P12ihipStream_tbEUlT_E1_NS1_11comp_targetILNS1_3genE4ELNS1_11target_archE910ELNS1_3gpuE8ELNS1_3repE0EEENS1_30default_config_static_selectorELNS0_4arch9wavefront6targetE1EEEvSI_.num_vgpr, 0
	.set _ZN7rocprim17ROCPRIM_400000_NS6detail17trampoline_kernelINS0_14default_configENS1_22reduce_config_selectorIN6thrust23THRUST_200600_302600_NS5tupleIbffNS6_9null_typeES8_S8_S8_S8_S8_S8_EEEEZNS1_11reduce_implILb1ES3_PS9_SC_S9_12reduce_tupleIifEEE10hipError_tPvRmT1_T2_T3_mT4_P12ihipStream_tbEUlT_E1_NS1_11comp_targetILNS1_3genE4ELNS1_11target_archE910ELNS1_3gpuE8ELNS1_3repE0EEENS1_30default_config_static_selectorELNS0_4arch9wavefront6targetE1EEEvSI_.num_agpr, 0
	.set _ZN7rocprim17ROCPRIM_400000_NS6detail17trampoline_kernelINS0_14default_configENS1_22reduce_config_selectorIN6thrust23THRUST_200600_302600_NS5tupleIbffNS6_9null_typeES8_S8_S8_S8_S8_S8_EEEEZNS1_11reduce_implILb1ES3_PS9_SC_S9_12reduce_tupleIifEEE10hipError_tPvRmT1_T2_T3_mT4_P12ihipStream_tbEUlT_E1_NS1_11comp_targetILNS1_3genE4ELNS1_11target_archE910ELNS1_3gpuE8ELNS1_3repE0EEENS1_30default_config_static_selectorELNS0_4arch9wavefront6targetE1EEEvSI_.numbered_sgpr, 0
	.set _ZN7rocprim17ROCPRIM_400000_NS6detail17trampoline_kernelINS0_14default_configENS1_22reduce_config_selectorIN6thrust23THRUST_200600_302600_NS5tupleIbffNS6_9null_typeES8_S8_S8_S8_S8_S8_EEEEZNS1_11reduce_implILb1ES3_PS9_SC_S9_12reduce_tupleIifEEE10hipError_tPvRmT1_T2_T3_mT4_P12ihipStream_tbEUlT_E1_NS1_11comp_targetILNS1_3genE4ELNS1_11target_archE910ELNS1_3gpuE8ELNS1_3repE0EEENS1_30default_config_static_selectorELNS0_4arch9wavefront6targetE1EEEvSI_.num_named_barrier, 0
	.set _ZN7rocprim17ROCPRIM_400000_NS6detail17trampoline_kernelINS0_14default_configENS1_22reduce_config_selectorIN6thrust23THRUST_200600_302600_NS5tupleIbffNS6_9null_typeES8_S8_S8_S8_S8_S8_EEEEZNS1_11reduce_implILb1ES3_PS9_SC_S9_12reduce_tupleIifEEE10hipError_tPvRmT1_T2_T3_mT4_P12ihipStream_tbEUlT_E1_NS1_11comp_targetILNS1_3genE4ELNS1_11target_archE910ELNS1_3gpuE8ELNS1_3repE0EEENS1_30default_config_static_selectorELNS0_4arch9wavefront6targetE1EEEvSI_.private_seg_size, 0
	.set _ZN7rocprim17ROCPRIM_400000_NS6detail17trampoline_kernelINS0_14default_configENS1_22reduce_config_selectorIN6thrust23THRUST_200600_302600_NS5tupleIbffNS6_9null_typeES8_S8_S8_S8_S8_S8_EEEEZNS1_11reduce_implILb1ES3_PS9_SC_S9_12reduce_tupleIifEEE10hipError_tPvRmT1_T2_T3_mT4_P12ihipStream_tbEUlT_E1_NS1_11comp_targetILNS1_3genE4ELNS1_11target_archE910ELNS1_3gpuE8ELNS1_3repE0EEENS1_30default_config_static_selectorELNS0_4arch9wavefront6targetE1EEEvSI_.uses_vcc, 0
	.set _ZN7rocprim17ROCPRIM_400000_NS6detail17trampoline_kernelINS0_14default_configENS1_22reduce_config_selectorIN6thrust23THRUST_200600_302600_NS5tupleIbffNS6_9null_typeES8_S8_S8_S8_S8_S8_EEEEZNS1_11reduce_implILb1ES3_PS9_SC_S9_12reduce_tupleIifEEE10hipError_tPvRmT1_T2_T3_mT4_P12ihipStream_tbEUlT_E1_NS1_11comp_targetILNS1_3genE4ELNS1_11target_archE910ELNS1_3gpuE8ELNS1_3repE0EEENS1_30default_config_static_selectorELNS0_4arch9wavefront6targetE1EEEvSI_.uses_flat_scratch, 0
	.set _ZN7rocprim17ROCPRIM_400000_NS6detail17trampoline_kernelINS0_14default_configENS1_22reduce_config_selectorIN6thrust23THRUST_200600_302600_NS5tupleIbffNS6_9null_typeES8_S8_S8_S8_S8_S8_EEEEZNS1_11reduce_implILb1ES3_PS9_SC_S9_12reduce_tupleIifEEE10hipError_tPvRmT1_T2_T3_mT4_P12ihipStream_tbEUlT_E1_NS1_11comp_targetILNS1_3genE4ELNS1_11target_archE910ELNS1_3gpuE8ELNS1_3repE0EEENS1_30default_config_static_selectorELNS0_4arch9wavefront6targetE1EEEvSI_.has_dyn_sized_stack, 0
	.set _ZN7rocprim17ROCPRIM_400000_NS6detail17trampoline_kernelINS0_14default_configENS1_22reduce_config_selectorIN6thrust23THRUST_200600_302600_NS5tupleIbffNS6_9null_typeES8_S8_S8_S8_S8_S8_EEEEZNS1_11reduce_implILb1ES3_PS9_SC_S9_12reduce_tupleIifEEE10hipError_tPvRmT1_T2_T3_mT4_P12ihipStream_tbEUlT_E1_NS1_11comp_targetILNS1_3genE4ELNS1_11target_archE910ELNS1_3gpuE8ELNS1_3repE0EEENS1_30default_config_static_selectorELNS0_4arch9wavefront6targetE1EEEvSI_.has_recursion, 0
	.set _ZN7rocprim17ROCPRIM_400000_NS6detail17trampoline_kernelINS0_14default_configENS1_22reduce_config_selectorIN6thrust23THRUST_200600_302600_NS5tupleIbffNS6_9null_typeES8_S8_S8_S8_S8_S8_EEEEZNS1_11reduce_implILb1ES3_PS9_SC_S9_12reduce_tupleIifEEE10hipError_tPvRmT1_T2_T3_mT4_P12ihipStream_tbEUlT_E1_NS1_11comp_targetILNS1_3genE4ELNS1_11target_archE910ELNS1_3gpuE8ELNS1_3repE0EEENS1_30default_config_static_selectorELNS0_4arch9wavefront6targetE1EEEvSI_.has_indirect_call, 0
	.section	.AMDGPU.csdata,"",@progbits
; Kernel info:
; codeLenInByte = 0
; TotalNumSgprs: 4
; NumVgprs: 0
; ScratchSize: 0
; MemoryBound: 0
; FloatMode: 240
; IeeeMode: 1
; LDSByteSize: 0 bytes/workgroup (compile time only)
; SGPRBlocks: 0
; VGPRBlocks: 0
; NumSGPRsForWavesPerEU: 4
; NumVGPRsForWavesPerEU: 1
; Occupancy: 10
; WaveLimiterHint : 0
; COMPUTE_PGM_RSRC2:SCRATCH_EN: 0
; COMPUTE_PGM_RSRC2:USER_SGPR: 6
; COMPUTE_PGM_RSRC2:TRAP_HANDLER: 0
; COMPUTE_PGM_RSRC2:TGID_X_EN: 1
; COMPUTE_PGM_RSRC2:TGID_Y_EN: 0
; COMPUTE_PGM_RSRC2:TGID_Z_EN: 0
; COMPUTE_PGM_RSRC2:TIDIG_COMP_CNT: 0
	.section	.text._ZN7rocprim17ROCPRIM_400000_NS6detail17trampoline_kernelINS0_14default_configENS1_22reduce_config_selectorIN6thrust23THRUST_200600_302600_NS5tupleIbffNS6_9null_typeES8_S8_S8_S8_S8_S8_EEEEZNS1_11reduce_implILb1ES3_PS9_SC_S9_12reduce_tupleIifEEE10hipError_tPvRmT1_T2_T3_mT4_P12ihipStream_tbEUlT_E1_NS1_11comp_targetILNS1_3genE3ELNS1_11target_archE908ELNS1_3gpuE7ELNS1_3repE0EEENS1_30default_config_static_selectorELNS0_4arch9wavefront6targetE1EEEvSI_,"axG",@progbits,_ZN7rocprim17ROCPRIM_400000_NS6detail17trampoline_kernelINS0_14default_configENS1_22reduce_config_selectorIN6thrust23THRUST_200600_302600_NS5tupleIbffNS6_9null_typeES8_S8_S8_S8_S8_S8_EEEEZNS1_11reduce_implILb1ES3_PS9_SC_S9_12reduce_tupleIifEEE10hipError_tPvRmT1_T2_T3_mT4_P12ihipStream_tbEUlT_E1_NS1_11comp_targetILNS1_3genE3ELNS1_11target_archE908ELNS1_3gpuE7ELNS1_3repE0EEENS1_30default_config_static_selectorELNS0_4arch9wavefront6targetE1EEEvSI_,comdat
	.protected	_ZN7rocprim17ROCPRIM_400000_NS6detail17trampoline_kernelINS0_14default_configENS1_22reduce_config_selectorIN6thrust23THRUST_200600_302600_NS5tupleIbffNS6_9null_typeES8_S8_S8_S8_S8_S8_EEEEZNS1_11reduce_implILb1ES3_PS9_SC_S9_12reduce_tupleIifEEE10hipError_tPvRmT1_T2_T3_mT4_P12ihipStream_tbEUlT_E1_NS1_11comp_targetILNS1_3genE3ELNS1_11target_archE908ELNS1_3gpuE7ELNS1_3repE0EEENS1_30default_config_static_selectorELNS0_4arch9wavefront6targetE1EEEvSI_ ; -- Begin function _ZN7rocprim17ROCPRIM_400000_NS6detail17trampoline_kernelINS0_14default_configENS1_22reduce_config_selectorIN6thrust23THRUST_200600_302600_NS5tupleIbffNS6_9null_typeES8_S8_S8_S8_S8_S8_EEEEZNS1_11reduce_implILb1ES3_PS9_SC_S9_12reduce_tupleIifEEE10hipError_tPvRmT1_T2_T3_mT4_P12ihipStream_tbEUlT_E1_NS1_11comp_targetILNS1_3genE3ELNS1_11target_archE908ELNS1_3gpuE7ELNS1_3repE0EEENS1_30default_config_static_selectorELNS0_4arch9wavefront6targetE1EEEvSI_
	.globl	_ZN7rocprim17ROCPRIM_400000_NS6detail17trampoline_kernelINS0_14default_configENS1_22reduce_config_selectorIN6thrust23THRUST_200600_302600_NS5tupleIbffNS6_9null_typeES8_S8_S8_S8_S8_S8_EEEEZNS1_11reduce_implILb1ES3_PS9_SC_S9_12reduce_tupleIifEEE10hipError_tPvRmT1_T2_T3_mT4_P12ihipStream_tbEUlT_E1_NS1_11comp_targetILNS1_3genE3ELNS1_11target_archE908ELNS1_3gpuE7ELNS1_3repE0EEENS1_30default_config_static_selectorELNS0_4arch9wavefront6targetE1EEEvSI_
	.p2align	8
	.type	_ZN7rocprim17ROCPRIM_400000_NS6detail17trampoline_kernelINS0_14default_configENS1_22reduce_config_selectorIN6thrust23THRUST_200600_302600_NS5tupleIbffNS6_9null_typeES8_S8_S8_S8_S8_S8_EEEEZNS1_11reduce_implILb1ES3_PS9_SC_S9_12reduce_tupleIifEEE10hipError_tPvRmT1_T2_T3_mT4_P12ihipStream_tbEUlT_E1_NS1_11comp_targetILNS1_3genE3ELNS1_11target_archE908ELNS1_3gpuE7ELNS1_3repE0EEENS1_30default_config_static_selectorELNS0_4arch9wavefront6targetE1EEEvSI_,@function
_ZN7rocprim17ROCPRIM_400000_NS6detail17trampoline_kernelINS0_14default_configENS1_22reduce_config_selectorIN6thrust23THRUST_200600_302600_NS5tupleIbffNS6_9null_typeES8_S8_S8_S8_S8_S8_EEEEZNS1_11reduce_implILb1ES3_PS9_SC_S9_12reduce_tupleIifEEE10hipError_tPvRmT1_T2_T3_mT4_P12ihipStream_tbEUlT_E1_NS1_11comp_targetILNS1_3genE3ELNS1_11target_archE908ELNS1_3gpuE7ELNS1_3repE0EEENS1_30default_config_static_selectorELNS0_4arch9wavefront6targetE1EEEvSI_: ; @_ZN7rocprim17ROCPRIM_400000_NS6detail17trampoline_kernelINS0_14default_configENS1_22reduce_config_selectorIN6thrust23THRUST_200600_302600_NS5tupleIbffNS6_9null_typeES8_S8_S8_S8_S8_S8_EEEEZNS1_11reduce_implILb1ES3_PS9_SC_S9_12reduce_tupleIifEEE10hipError_tPvRmT1_T2_T3_mT4_P12ihipStream_tbEUlT_E1_NS1_11comp_targetILNS1_3genE3ELNS1_11target_archE908ELNS1_3gpuE7ELNS1_3repE0EEENS1_30default_config_static_selectorELNS0_4arch9wavefront6targetE1EEEvSI_
; %bb.0:
	.section	.rodata,"a",@progbits
	.p2align	6, 0x0
	.amdhsa_kernel _ZN7rocprim17ROCPRIM_400000_NS6detail17trampoline_kernelINS0_14default_configENS1_22reduce_config_selectorIN6thrust23THRUST_200600_302600_NS5tupleIbffNS6_9null_typeES8_S8_S8_S8_S8_S8_EEEEZNS1_11reduce_implILb1ES3_PS9_SC_S9_12reduce_tupleIifEEE10hipError_tPvRmT1_T2_T3_mT4_P12ihipStream_tbEUlT_E1_NS1_11comp_targetILNS1_3genE3ELNS1_11target_archE908ELNS1_3gpuE7ELNS1_3repE0EEENS1_30default_config_static_selectorELNS0_4arch9wavefront6targetE1EEEvSI_
		.amdhsa_group_segment_fixed_size 0
		.amdhsa_private_segment_fixed_size 0
		.amdhsa_kernarg_size 48
		.amdhsa_user_sgpr_count 6
		.amdhsa_user_sgpr_private_segment_buffer 1
		.amdhsa_user_sgpr_dispatch_ptr 0
		.amdhsa_user_sgpr_queue_ptr 0
		.amdhsa_user_sgpr_kernarg_segment_ptr 1
		.amdhsa_user_sgpr_dispatch_id 0
		.amdhsa_user_sgpr_flat_scratch_init 0
		.amdhsa_user_sgpr_private_segment_size 0
		.amdhsa_uses_dynamic_stack 0
		.amdhsa_system_sgpr_private_segment_wavefront_offset 0
		.amdhsa_system_sgpr_workgroup_id_x 1
		.amdhsa_system_sgpr_workgroup_id_y 0
		.amdhsa_system_sgpr_workgroup_id_z 0
		.amdhsa_system_sgpr_workgroup_info 0
		.amdhsa_system_vgpr_workitem_id 0
		.amdhsa_next_free_vgpr 1
		.amdhsa_next_free_sgpr 0
		.amdhsa_reserve_vcc 0
		.amdhsa_reserve_flat_scratch 0
		.amdhsa_float_round_mode_32 0
		.amdhsa_float_round_mode_16_64 0
		.amdhsa_float_denorm_mode_32 3
		.amdhsa_float_denorm_mode_16_64 3
		.amdhsa_dx10_clamp 1
		.amdhsa_ieee_mode 1
		.amdhsa_fp16_overflow 0
		.amdhsa_exception_fp_ieee_invalid_op 0
		.amdhsa_exception_fp_denorm_src 0
		.amdhsa_exception_fp_ieee_div_zero 0
		.amdhsa_exception_fp_ieee_overflow 0
		.amdhsa_exception_fp_ieee_underflow 0
		.amdhsa_exception_fp_ieee_inexact 0
		.amdhsa_exception_int_div_zero 0
	.end_amdhsa_kernel
	.section	.text._ZN7rocprim17ROCPRIM_400000_NS6detail17trampoline_kernelINS0_14default_configENS1_22reduce_config_selectorIN6thrust23THRUST_200600_302600_NS5tupleIbffNS6_9null_typeES8_S8_S8_S8_S8_S8_EEEEZNS1_11reduce_implILb1ES3_PS9_SC_S9_12reduce_tupleIifEEE10hipError_tPvRmT1_T2_T3_mT4_P12ihipStream_tbEUlT_E1_NS1_11comp_targetILNS1_3genE3ELNS1_11target_archE908ELNS1_3gpuE7ELNS1_3repE0EEENS1_30default_config_static_selectorELNS0_4arch9wavefront6targetE1EEEvSI_,"axG",@progbits,_ZN7rocprim17ROCPRIM_400000_NS6detail17trampoline_kernelINS0_14default_configENS1_22reduce_config_selectorIN6thrust23THRUST_200600_302600_NS5tupleIbffNS6_9null_typeES8_S8_S8_S8_S8_S8_EEEEZNS1_11reduce_implILb1ES3_PS9_SC_S9_12reduce_tupleIifEEE10hipError_tPvRmT1_T2_T3_mT4_P12ihipStream_tbEUlT_E1_NS1_11comp_targetILNS1_3genE3ELNS1_11target_archE908ELNS1_3gpuE7ELNS1_3repE0EEENS1_30default_config_static_selectorELNS0_4arch9wavefront6targetE1EEEvSI_,comdat
.Lfunc_end13:
	.size	_ZN7rocprim17ROCPRIM_400000_NS6detail17trampoline_kernelINS0_14default_configENS1_22reduce_config_selectorIN6thrust23THRUST_200600_302600_NS5tupleIbffNS6_9null_typeES8_S8_S8_S8_S8_S8_EEEEZNS1_11reduce_implILb1ES3_PS9_SC_S9_12reduce_tupleIifEEE10hipError_tPvRmT1_T2_T3_mT4_P12ihipStream_tbEUlT_E1_NS1_11comp_targetILNS1_3genE3ELNS1_11target_archE908ELNS1_3gpuE7ELNS1_3repE0EEENS1_30default_config_static_selectorELNS0_4arch9wavefront6targetE1EEEvSI_, .Lfunc_end13-_ZN7rocprim17ROCPRIM_400000_NS6detail17trampoline_kernelINS0_14default_configENS1_22reduce_config_selectorIN6thrust23THRUST_200600_302600_NS5tupleIbffNS6_9null_typeES8_S8_S8_S8_S8_S8_EEEEZNS1_11reduce_implILb1ES3_PS9_SC_S9_12reduce_tupleIifEEE10hipError_tPvRmT1_T2_T3_mT4_P12ihipStream_tbEUlT_E1_NS1_11comp_targetILNS1_3genE3ELNS1_11target_archE908ELNS1_3gpuE7ELNS1_3repE0EEENS1_30default_config_static_selectorELNS0_4arch9wavefront6targetE1EEEvSI_
                                        ; -- End function
	.set _ZN7rocprim17ROCPRIM_400000_NS6detail17trampoline_kernelINS0_14default_configENS1_22reduce_config_selectorIN6thrust23THRUST_200600_302600_NS5tupleIbffNS6_9null_typeES8_S8_S8_S8_S8_S8_EEEEZNS1_11reduce_implILb1ES3_PS9_SC_S9_12reduce_tupleIifEEE10hipError_tPvRmT1_T2_T3_mT4_P12ihipStream_tbEUlT_E1_NS1_11comp_targetILNS1_3genE3ELNS1_11target_archE908ELNS1_3gpuE7ELNS1_3repE0EEENS1_30default_config_static_selectorELNS0_4arch9wavefront6targetE1EEEvSI_.num_vgpr, 0
	.set _ZN7rocprim17ROCPRIM_400000_NS6detail17trampoline_kernelINS0_14default_configENS1_22reduce_config_selectorIN6thrust23THRUST_200600_302600_NS5tupleIbffNS6_9null_typeES8_S8_S8_S8_S8_S8_EEEEZNS1_11reduce_implILb1ES3_PS9_SC_S9_12reduce_tupleIifEEE10hipError_tPvRmT1_T2_T3_mT4_P12ihipStream_tbEUlT_E1_NS1_11comp_targetILNS1_3genE3ELNS1_11target_archE908ELNS1_3gpuE7ELNS1_3repE0EEENS1_30default_config_static_selectorELNS0_4arch9wavefront6targetE1EEEvSI_.num_agpr, 0
	.set _ZN7rocprim17ROCPRIM_400000_NS6detail17trampoline_kernelINS0_14default_configENS1_22reduce_config_selectorIN6thrust23THRUST_200600_302600_NS5tupleIbffNS6_9null_typeES8_S8_S8_S8_S8_S8_EEEEZNS1_11reduce_implILb1ES3_PS9_SC_S9_12reduce_tupleIifEEE10hipError_tPvRmT1_T2_T3_mT4_P12ihipStream_tbEUlT_E1_NS1_11comp_targetILNS1_3genE3ELNS1_11target_archE908ELNS1_3gpuE7ELNS1_3repE0EEENS1_30default_config_static_selectorELNS0_4arch9wavefront6targetE1EEEvSI_.numbered_sgpr, 0
	.set _ZN7rocprim17ROCPRIM_400000_NS6detail17trampoline_kernelINS0_14default_configENS1_22reduce_config_selectorIN6thrust23THRUST_200600_302600_NS5tupleIbffNS6_9null_typeES8_S8_S8_S8_S8_S8_EEEEZNS1_11reduce_implILb1ES3_PS9_SC_S9_12reduce_tupleIifEEE10hipError_tPvRmT1_T2_T3_mT4_P12ihipStream_tbEUlT_E1_NS1_11comp_targetILNS1_3genE3ELNS1_11target_archE908ELNS1_3gpuE7ELNS1_3repE0EEENS1_30default_config_static_selectorELNS0_4arch9wavefront6targetE1EEEvSI_.num_named_barrier, 0
	.set _ZN7rocprim17ROCPRIM_400000_NS6detail17trampoline_kernelINS0_14default_configENS1_22reduce_config_selectorIN6thrust23THRUST_200600_302600_NS5tupleIbffNS6_9null_typeES8_S8_S8_S8_S8_S8_EEEEZNS1_11reduce_implILb1ES3_PS9_SC_S9_12reduce_tupleIifEEE10hipError_tPvRmT1_T2_T3_mT4_P12ihipStream_tbEUlT_E1_NS1_11comp_targetILNS1_3genE3ELNS1_11target_archE908ELNS1_3gpuE7ELNS1_3repE0EEENS1_30default_config_static_selectorELNS0_4arch9wavefront6targetE1EEEvSI_.private_seg_size, 0
	.set _ZN7rocprim17ROCPRIM_400000_NS6detail17trampoline_kernelINS0_14default_configENS1_22reduce_config_selectorIN6thrust23THRUST_200600_302600_NS5tupleIbffNS6_9null_typeES8_S8_S8_S8_S8_S8_EEEEZNS1_11reduce_implILb1ES3_PS9_SC_S9_12reduce_tupleIifEEE10hipError_tPvRmT1_T2_T3_mT4_P12ihipStream_tbEUlT_E1_NS1_11comp_targetILNS1_3genE3ELNS1_11target_archE908ELNS1_3gpuE7ELNS1_3repE0EEENS1_30default_config_static_selectorELNS0_4arch9wavefront6targetE1EEEvSI_.uses_vcc, 0
	.set _ZN7rocprim17ROCPRIM_400000_NS6detail17trampoline_kernelINS0_14default_configENS1_22reduce_config_selectorIN6thrust23THRUST_200600_302600_NS5tupleIbffNS6_9null_typeES8_S8_S8_S8_S8_S8_EEEEZNS1_11reduce_implILb1ES3_PS9_SC_S9_12reduce_tupleIifEEE10hipError_tPvRmT1_T2_T3_mT4_P12ihipStream_tbEUlT_E1_NS1_11comp_targetILNS1_3genE3ELNS1_11target_archE908ELNS1_3gpuE7ELNS1_3repE0EEENS1_30default_config_static_selectorELNS0_4arch9wavefront6targetE1EEEvSI_.uses_flat_scratch, 0
	.set _ZN7rocprim17ROCPRIM_400000_NS6detail17trampoline_kernelINS0_14default_configENS1_22reduce_config_selectorIN6thrust23THRUST_200600_302600_NS5tupleIbffNS6_9null_typeES8_S8_S8_S8_S8_S8_EEEEZNS1_11reduce_implILb1ES3_PS9_SC_S9_12reduce_tupleIifEEE10hipError_tPvRmT1_T2_T3_mT4_P12ihipStream_tbEUlT_E1_NS1_11comp_targetILNS1_3genE3ELNS1_11target_archE908ELNS1_3gpuE7ELNS1_3repE0EEENS1_30default_config_static_selectorELNS0_4arch9wavefront6targetE1EEEvSI_.has_dyn_sized_stack, 0
	.set _ZN7rocprim17ROCPRIM_400000_NS6detail17trampoline_kernelINS0_14default_configENS1_22reduce_config_selectorIN6thrust23THRUST_200600_302600_NS5tupleIbffNS6_9null_typeES8_S8_S8_S8_S8_S8_EEEEZNS1_11reduce_implILb1ES3_PS9_SC_S9_12reduce_tupleIifEEE10hipError_tPvRmT1_T2_T3_mT4_P12ihipStream_tbEUlT_E1_NS1_11comp_targetILNS1_3genE3ELNS1_11target_archE908ELNS1_3gpuE7ELNS1_3repE0EEENS1_30default_config_static_selectorELNS0_4arch9wavefront6targetE1EEEvSI_.has_recursion, 0
	.set _ZN7rocprim17ROCPRIM_400000_NS6detail17trampoline_kernelINS0_14default_configENS1_22reduce_config_selectorIN6thrust23THRUST_200600_302600_NS5tupleIbffNS6_9null_typeES8_S8_S8_S8_S8_S8_EEEEZNS1_11reduce_implILb1ES3_PS9_SC_S9_12reduce_tupleIifEEE10hipError_tPvRmT1_T2_T3_mT4_P12ihipStream_tbEUlT_E1_NS1_11comp_targetILNS1_3genE3ELNS1_11target_archE908ELNS1_3gpuE7ELNS1_3repE0EEENS1_30default_config_static_selectorELNS0_4arch9wavefront6targetE1EEEvSI_.has_indirect_call, 0
	.section	.AMDGPU.csdata,"",@progbits
; Kernel info:
; codeLenInByte = 0
; TotalNumSgprs: 4
; NumVgprs: 0
; ScratchSize: 0
; MemoryBound: 0
; FloatMode: 240
; IeeeMode: 1
; LDSByteSize: 0 bytes/workgroup (compile time only)
; SGPRBlocks: 0
; VGPRBlocks: 0
; NumSGPRsForWavesPerEU: 4
; NumVGPRsForWavesPerEU: 1
; Occupancy: 10
; WaveLimiterHint : 0
; COMPUTE_PGM_RSRC2:SCRATCH_EN: 0
; COMPUTE_PGM_RSRC2:USER_SGPR: 6
; COMPUTE_PGM_RSRC2:TRAP_HANDLER: 0
; COMPUTE_PGM_RSRC2:TGID_X_EN: 1
; COMPUTE_PGM_RSRC2:TGID_Y_EN: 0
; COMPUTE_PGM_RSRC2:TGID_Z_EN: 0
; COMPUTE_PGM_RSRC2:TIDIG_COMP_CNT: 0
	.section	.text._ZN7rocprim17ROCPRIM_400000_NS6detail17trampoline_kernelINS0_14default_configENS1_22reduce_config_selectorIN6thrust23THRUST_200600_302600_NS5tupleIbffNS6_9null_typeES8_S8_S8_S8_S8_S8_EEEEZNS1_11reduce_implILb1ES3_PS9_SC_S9_12reduce_tupleIifEEE10hipError_tPvRmT1_T2_T3_mT4_P12ihipStream_tbEUlT_E1_NS1_11comp_targetILNS1_3genE2ELNS1_11target_archE906ELNS1_3gpuE6ELNS1_3repE0EEENS1_30default_config_static_selectorELNS0_4arch9wavefront6targetE1EEEvSI_,"axG",@progbits,_ZN7rocprim17ROCPRIM_400000_NS6detail17trampoline_kernelINS0_14default_configENS1_22reduce_config_selectorIN6thrust23THRUST_200600_302600_NS5tupleIbffNS6_9null_typeES8_S8_S8_S8_S8_S8_EEEEZNS1_11reduce_implILb1ES3_PS9_SC_S9_12reduce_tupleIifEEE10hipError_tPvRmT1_T2_T3_mT4_P12ihipStream_tbEUlT_E1_NS1_11comp_targetILNS1_3genE2ELNS1_11target_archE906ELNS1_3gpuE6ELNS1_3repE0EEENS1_30default_config_static_selectorELNS0_4arch9wavefront6targetE1EEEvSI_,comdat
	.protected	_ZN7rocprim17ROCPRIM_400000_NS6detail17trampoline_kernelINS0_14default_configENS1_22reduce_config_selectorIN6thrust23THRUST_200600_302600_NS5tupleIbffNS6_9null_typeES8_S8_S8_S8_S8_S8_EEEEZNS1_11reduce_implILb1ES3_PS9_SC_S9_12reduce_tupleIifEEE10hipError_tPvRmT1_T2_T3_mT4_P12ihipStream_tbEUlT_E1_NS1_11comp_targetILNS1_3genE2ELNS1_11target_archE906ELNS1_3gpuE6ELNS1_3repE0EEENS1_30default_config_static_selectorELNS0_4arch9wavefront6targetE1EEEvSI_ ; -- Begin function _ZN7rocprim17ROCPRIM_400000_NS6detail17trampoline_kernelINS0_14default_configENS1_22reduce_config_selectorIN6thrust23THRUST_200600_302600_NS5tupleIbffNS6_9null_typeES8_S8_S8_S8_S8_S8_EEEEZNS1_11reduce_implILb1ES3_PS9_SC_S9_12reduce_tupleIifEEE10hipError_tPvRmT1_T2_T3_mT4_P12ihipStream_tbEUlT_E1_NS1_11comp_targetILNS1_3genE2ELNS1_11target_archE906ELNS1_3gpuE6ELNS1_3repE0EEENS1_30default_config_static_selectorELNS0_4arch9wavefront6targetE1EEEvSI_
	.globl	_ZN7rocprim17ROCPRIM_400000_NS6detail17trampoline_kernelINS0_14default_configENS1_22reduce_config_selectorIN6thrust23THRUST_200600_302600_NS5tupleIbffNS6_9null_typeES8_S8_S8_S8_S8_S8_EEEEZNS1_11reduce_implILb1ES3_PS9_SC_S9_12reduce_tupleIifEEE10hipError_tPvRmT1_T2_T3_mT4_P12ihipStream_tbEUlT_E1_NS1_11comp_targetILNS1_3genE2ELNS1_11target_archE906ELNS1_3gpuE6ELNS1_3repE0EEENS1_30default_config_static_selectorELNS0_4arch9wavefront6targetE1EEEvSI_
	.p2align	8
	.type	_ZN7rocprim17ROCPRIM_400000_NS6detail17trampoline_kernelINS0_14default_configENS1_22reduce_config_selectorIN6thrust23THRUST_200600_302600_NS5tupleIbffNS6_9null_typeES8_S8_S8_S8_S8_S8_EEEEZNS1_11reduce_implILb1ES3_PS9_SC_S9_12reduce_tupleIifEEE10hipError_tPvRmT1_T2_T3_mT4_P12ihipStream_tbEUlT_E1_NS1_11comp_targetILNS1_3genE2ELNS1_11target_archE906ELNS1_3gpuE6ELNS1_3repE0EEENS1_30default_config_static_selectorELNS0_4arch9wavefront6targetE1EEEvSI_,@function
_ZN7rocprim17ROCPRIM_400000_NS6detail17trampoline_kernelINS0_14default_configENS1_22reduce_config_selectorIN6thrust23THRUST_200600_302600_NS5tupleIbffNS6_9null_typeES8_S8_S8_S8_S8_S8_EEEEZNS1_11reduce_implILb1ES3_PS9_SC_S9_12reduce_tupleIifEEE10hipError_tPvRmT1_T2_T3_mT4_P12ihipStream_tbEUlT_E1_NS1_11comp_targetILNS1_3genE2ELNS1_11target_archE906ELNS1_3gpuE6ELNS1_3repE0EEENS1_30default_config_static_selectorELNS0_4arch9wavefront6targetE1EEEvSI_: ; @_ZN7rocprim17ROCPRIM_400000_NS6detail17trampoline_kernelINS0_14default_configENS1_22reduce_config_selectorIN6thrust23THRUST_200600_302600_NS5tupleIbffNS6_9null_typeES8_S8_S8_S8_S8_S8_EEEEZNS1_11reduce_implILb1ES3_PS9_SC_S9_12reduce_tupleIifEEE10hipError_tPvRmT1_T2_T3_mT4_P12ihipStream_tbEUlT_E1_NS1_11comp_targetILNS1_3genE2ELNS1_11target_archE906ELNS1_3gpuE6ELNS1_3repE0EEENS1_30default_config_static_selectorELNS0_4arch9wavefront6targetE1EEEvSI_
; %bb.0:
	s_load_dword s46, s[4:5], 0x4
	s_load_dwordx4 s[36:39], s[4:5], 0x8
	s_load_dword s33, s[4:5], 0x20
	s_load_dwordx2 s[40:41], s[4:5], 0x24
	s_waitcnt lgkmcnt(0)
	s_cmp_lt_i32 s46, 4
	s_cbranch_scc1 .LBB14_142
; %bb.1:
	s_cmp_gt_i32 s46, 7
	s_cbranch_scc0 .LBB14_143
; %bb.2:
	s_cmp_gt_i32 s46, 15
	s_cbranch_scc0 .LBB14_144
; %bb.3:
	s_cmp_eq_u32 s46, 16
	s_mov_b64 s[42:43], 0
	s_cbranch_scc0 .LBB14_145
; %bb.4:
	s_lshl_b32 s10, s6, 11
	s_lshr_b64 s[0:1], s[38:39], 11
	s_mul_i32 s2, s6, 0x6000
	s_mul_hi_u32 s3, s10, 12
	s_add_u32 s34, s36, s2
	s_mov_b32 s7, 0
	s_addc_u32 s35, s37, s3
	s_cmp_lg_u64 s[0:1], s[6:7]
	s_cbranch_scc0 .LBB14_238
; %bb.5:
	v_mad_u64_u32 v[3:4], s[0:1], v0, 12, s[34:35]
	global_load_ubyte v48, v[3:4], off
	global_load_dwordx2 v[1:2], v[3:4], off offset:4
	global_load_ubyte v47, v[3:4], off offset:1536
	global_load_dwordx2 v[31:32], v[3:4], off offset:1540
	v_add_co_u32_e32 v5, vcc, 0x1000, v3
	v_addc_co_u32_e32 v6, vcc, 0, v4, vcc
	global_load_ubyte v46, v[3:4], off offset:3072
	global_load_dwordx2 v[29:30], v[3:4], off offset:3076
	global_load_ubyte v45, v[5:6], off offset:512
	global_load_dwordx2 v[27:28], v[5:6], off offset:516
	;; [unrolled: 2-line block ×4, first 2 shown]
	v_add_co_u32_e32 v5, vcc, 0x2000, v3
	v_addc_co_u32_e32 v6, vcc, 0, v4, vcc
	global_load_ubyte v42, v[5:6], off offset:1024
	global_load_dwordx2 v[21:22], v[5:6], off offset:1028
	global_load_ubyte v41, v[5:6], off offset:2560
	global_load_dwordx2 v[19:20], v[5:6], off offset:2564
	v_add_co_u32_e32 v5, vcc, 0x3000, v3
	v_addc_co_u32_e32 v6, vcc, 0, v4, vcc
	v_add_co_u32_e32 v33, vcc, 0x4000, v3
	global_load_ubyte v40, v[5:6], off
	global_load_dwordx2 v[17:18], v[5:6], off offset:4
	global_load_ubyte v39, v[5:6], off offset:1536
	global_load_dwordx2 v[15:16], v[5:6], off offset:1540
	v_addc_co_u32_e32 v34, vcc, 0, v4, vcc
	global_load_ubyte v38, v[5:6], off offset:3072
	global_load_dwordx2 v[13:14], v[5:6], off offset:3076
	global_load_ubyte v37, v[33:34], off offset:512
	global_load_dwordx2 v[11:12], v[33:34], off offset:516
	;; [unrolled: 2-line block ×4, first 2 shown]
	v_add_co_u32_e32 v49, vcc, 0x5000, v3
	v_addc_co_u32_e32 v50, vcc, 0, v4, vcc
	global_load_ubyte v34, v[49:50], off offset:1024
	global_load_dwordx2 v[5:6], v[49:50], off offset:1028
	global_load_ubyte v33, v[49:50], off offset:2560
	global_load_dwordx2 v[3:4], v[49:50], off offset:2564
	s_waitcnt vmcnt(29)
	v_and_b32_e32 v49, v47, v48
	v_and_b32_e32 v49, 1, v49
	v_cmp_eq_u32_e32 vcc, 1, v49
	s_and_saveexec_b64 s[0:1], vcc
	s_xor_b64 s[0:1], exec, s[0:1]
	s_cbranch_execz .LBB14_7
; %bb.6:
	s_waitcnt vmcnt(28)
	v_cmp_lt_f32_e32 vcc, v31, v1
	v_cndmask_b32_e32 v1, v1, v31, vcc
	v_cmp_lt_f32_e32 vcc, v2, v32
	v_cndmask_b32_e32 v2, v2, v32, vcc
                                        ; implicit-def: $vgpr32
                                        ; implicit-def: $vgpr48
                                        ; implicit-def: $vgpr47
.LBB14_7:
	s_or_saveexec_b64 s[0:1], s[0:1]
	s_mov_b64 s[8:9], -1
	s_xor_b64 exec, exec, s[0:1]
	s_cbranch_execz .LBB14_11
; %bb.8:
	v_and_b32_e32 v48, 1, v48
	v_cmp_eq_u32_e32 vcc, 1, v48
	s_mov_b64 s[2:3], -1
	s_xor_b64 s[12:13], vcc, -1
	s_and_saveexec_b64 s[8:9], s[12:13]
	s_cbranch_execz .LBB14_10
; %bb.9:
	v_and_b32_e32 v1, 1, v47
	v_cmp_eq_u32_e32 vcc, 1, v1
	s_orn2_b64 s[2:3], vcc, exec
	s_waitcnt vmcnt(28)
	v_mov_b32_e32 v2, v32
	v_mov_b32_e32 v1, v31
.LBB14_10:
	s_or_b64 exec, exec, s[8:9]
	s_orn2_b64 s[8:9], s[2:3], exec
.LBB14_11:
	s_or_b64 exec, exec, s[0:1]
	s_waitcnt vmcnt(27)
	v_and_b32_e32 v31, 1, v46
	v_cmp_eq_u32_e32 vcc, 1, v31
	s_and_b64 s[0:1], s[8:9], vcc
	s_xor_b64 s[0:1], s[0:1], -1
                                        ; implicit-def: $sgpr2_sgpr3
	s_and_saveexec_b64 s[12:13], s[0:1]
	s_xor_b64 s[0:1], exec, s[12:13]
	s_cbranch_execz .LBB14_15
; %bb.12:
	s_xor_b64 s[12:13], s[8:9], -1
	s_mov_b64 s[2:3], -1
	s_and_saveexec_b64 s[8:9], s[12:13]
	s_cbranch_execz .LBB14_14
; %bb.13:
	s_orn2_b64 s[2:3], vcc, exec
	s_waitcnt vmcnt(26)
	v_mov_b32_e32 v2, v30
	v_mov_b32_e32 v1, v29
.LBB14_14:
	s_or_b64 exec, exec, s[8:9]
                                        ; implicit-def: $vgpr29_vgpr30
.LBB14_15:
	s_andn2_saveexec_b64 s[0:1], s[0:1]
	s_cbranch_execz .LBB14_17
; %bb.16:
	s_waitcnt vmcnt(26)
	v_cmp_lt_f32_e32 vcc, v29, v1
	v_cndmask_b32_e32 v1, v1, v29, vcc
	v_cmp_lt_f32_e32 vcc, v2, v30
	v_cndmask_b32_e32 v2, v2, v30, vcc
	s_or_b64 s[2:3], s[2:3], exec
.LBB14_17:
	s_or_b64 exec, exec, s[0:1]
	s_waitcnt vmcnt(25)
	v_and_b32_e32 v29, 1, v45
	v_cmp_eq_u32_e32 vcc, 1, v29
	s_and_b64 s[8:9], s[2:3], vcc
	s_mov_b64 s[0:1], -1
	s_xor_b64 s[8:9], s[8:9], -1
	s_and_saveexec_b64 s[12:13], s[8:9]
	s_xor_b64 s[8:9], exec, s[12:13]
	s_cbranch_execz .LBB14_21
; %bb.18:
	s_xor_b64 s[12:13], s[2:3], -1
	s_and_saveexec_b64 s[2:3], s[12:13]
	s_cbranch_execz .LBB14_20
; %bb.19:
	s_orn2_b64 s[0:1], vcc, exec
	s_waitcnt vmcnt(24)
	v_mov_b32_e32 v2, v28
	v_mov_b32_e32 v1, v27
.LBB14_20:
	s_or_b64 exec, exec, s[2:3]
                                        ; implicit-def: $vgpr27_vgpr28
.LBB14_21:
	s_andn2_saveexec_b64 s[2:3], s[8:9]
	s_cbranch_execz .LBB14_23
; %bb.22:
	s_waitcnt vmcnt(24)
	v_cmp_lt_f32_e32 vcc, v27, v1
	v_cndmask_b32_e32 v1, v1, v27, vcc
	v_cmp_lt_f32_e32 vcc, v2, v28
	v_cndmask_b32_e32 v2, v2, v28, vcc
	s_or_b64 s[0:1], s[0:1], exec
.LBB14_23:
	s_or_b64 exec, exec, s[2:3]
	s_waitcnt vmcnt(23)
	v_and_b32_e32 v27, 1, v44
	v_cmp_eq_u32_e32 vcc, 1, v27
	s_and_b64 s[8:9], s[0:1], vcc
	s_mov_b64 s[2:3], -1
	s_xor_b64 s[8:9], s[8:9], -1
	s_and_saveexec_b64 s[12:13], s[8:9]
	s_xor_b64 s[8:9], exec, s[12:13]
	s_cbranch_execz .LBB14_27
; %bb.24:
	s_xor_b64 s[12:13], s[0:1], -1
	s_and_saveexec_b64 s[0:1], s[12:13]
	s_cbranch_execz .LBB14_26
; %bb.25:
	s_orn2_b64 s[2:3], vcc, exec
	s_waitcnt vmcnt(22)
	v_mov_b32_e32 v2, v26
	v_mov_b32_e32 v1, v25
.LBB14_26:
	s_or_b64 exec, exec, s[0:1]
                                        ; implicit-def: $vgpr25_vgpr26
.LBB14_27:
	s_andn2_saveexec_b64 s[0:1], s[8:9]
	s_cbranch_execz .LBB14_29
; %bb.28:
	s_waitcnt vmcnt(22)
	v_cmp_lt_f32_e32 vcc, v25, v1
	v_cndmask_b32_e32 v1, v1, v25, vcc
	v_cmp_lt_f32_e32 vcc, v2, v26
	v_cndmask_b32_e32 v2, v2, v26, vcc
	s_or_b64 s[2:3], s[2:3], exec
.LBB14_29:
	s_or_b64 exec, exec, s[0:1]
	s_waitcnt vmcnt(21)
	v_and_b32_e32 v25, 1, v43
	v_cmp_eq_u32_e32 vcc, 1, v25
	s_and_b64 s[8:9], s[2:3], vcc
	s_mov_b64 s[0:1], -1
	s_xor_b64 s[8:9], s[8:9], -1
	s_and_saveexec_b64 s[12:13], s[8:9]
	s_xor_b64 s[8:9], exec, s[12:13]
	s_cbranch_execz .LBB14_33
; %bb.30:
	s_xor_b64 s[12:13], s[2:3], -1
	s_and_saveexec_b64 s[2:3], s[12:13]
	s_cbranch_execz .LBB14_32
; %bb.31:
	s_orn2_b64 s[0:1], vcc, exec
	s_waitcnt vmcnt(20)
	v_mov_b32_e32 v2, v24
	v_mov_b32_e32 v1, v23
.LBB14_32:
	s_or_b64 exec, exec, s[2:3]
                                        ; implicit-def: $vgpr23_vgpr24
.LBB14_33:
	s_andn2_saveexec_b64 s[2:3], s[8:9]
	s_cbranch_execz .LBB14_35
; %bb.34:
	s_waitcnt vmcnt(20)
	v_cmp_lt_f32_e32 vcc, v23, v1
	v_cndmask_b32_e32 v1, v1, v23, vcc
	v_cmp_lt_f32_e32 vcc, v2, v24
	v_cndmask_b32_e32 v2, v2, v24, vcc
	s_or_b64 s[0:1], s[0:1], exec
.LBB14_35:
	s_or_b64 exec, exec, s[2:3]
	s_waitcnt vmcnt(19)
	v_and_b32_e32 v23, 1, v42
	v_cmp_eq_u32_e32 vcc, 1, v23
	s_and_b64 s[8:9], s[0:1], vcc
	s_mov_b64 s[2:3], -1
	s_xor_b64 s[8:9], s[8:9], -1
	s_and_saveexec_b64 s[12:13], s[8:9]
	s_xor_b64 s[8:9], exec, s[12:13]
	s_cbranch_execz .LBB14_39
; %bb.36:
	s_xor_b64 s[12:13], s[0:1], -1
	s_and_saveexec_b64 s[0:1], s[12:13]
	s_cbranch_execz .LBB14_38
; %bb.37:
	s_orn2_b64 s[2:3], vcc, exec
	s_waitcnt vmcnt(18)
	v_mov_b32_e32 v2, v22
	v_mov_b32_e32 v1, v21
.LBB14_38:
	s_or_b64 exec, exec, s[0:1]
                                        ; implicit-def: $vgpr21_vgpr22
.LBB14_39:
	s_andn2_saveexec_b64 s[0:1], s[8:9]
	s_cbranch_execz .LBB14_41
; %bb.40:
	s_waitcnt vmcnt(18)
	v_cmp_lt_f32_e32 vcc, v21, v1
	v_cndmask_b32_e32 v1, v1, v21, vcc
	v_cmp_lt_f32_e32 vcc, v2, v22
	v_cndmask_b32_e32 v2, v2, v22, vcc
	s_or_b64 s[2:3], s[2:3], exec
.LBB14_41:
	s_or_b64 exec, exec, s[0:1]
	s_waitcnt vmcnt(17)
	v_and_b32_e32 v21, 1, v41
	v_cmp_eq_u32_e32 vcc, 1, v21
	s_and_b64 s[8:9], s[2:3], vcc
	s_mov_b64 s[0:1], -1
	s_xor_b64 s[8:9], s[8:9], -1
	s_and_saveexec_b64 s[12:13], s[8:9]
	s_xor_b64 s[8:9], exec, s[12:13]
	s_cbranch_execz .LBB14_45
; %bb.42:
	s_xor_b64 s[12:13], s[2:3], -1
	s_and_saveexec_b64 s[2:3], s[12:13]
	s_cbranch_execz .LBB14_44
; %bb.43:
	s_orn2_b64 s[0:1], vcc, exec
	s_waitcnt vmcnt(16)
	v_mov_b32_e32 v2, v20
	v_mov_b32_e32 v1, v19
.LBB14_44:
	s_or_b64 exec, exec, s[2:3]
                                        ; implicit-def: $vgpr19_vgpr20
.LBB14_45:
	s_andn2_saveexec_b64 s[2:3], s[8:9]
	s_cbranch_execz .LBB14_47
; %bb.46:
	s_waitcnt vmcnt(16)
	v_cmp_lt_f32_e32 vcc, v19, v1
	v_cndmask_b32_e32 v1, v1, v19, vcc
	v_cmp_lt_f32_e32 vcc, v2, v20
	v_cndmask_b32_e32 v2, v2, v20, vcc
	s_or_b64 s[0:1], s[0:1], exec
.LBB14_47:
	s_or_b64 exec, exec, s[2:3]
	s_waitcnt vmcnt(15)
	v_and_b32_e32 v19, 1, v40
	v_cmp_eq_u32_e32 vcc, 1, v19
	s_and_b64 s[8:9], s[0:1], vcc
	s_mov_b64 s[2:3], -1
	s_xor_b64 s[8:9], s[8:9], -1
	s_and_saveexec_b64 s[12:13], s[8:9]
	s_xor_b64 s[8:9], exec, s[12:13]
	s_cbranch_execz .LBB14_51
; %bb.48:
	s_xor_b64 s[12:13], s[0:1], -1
	s_and_saveexec_b64 s[0:1], s[12:13]
	s_cbranch_execz .LBB14_50
; %bb.49:
	s_orn2_b64 s[2:3], vcc, exec
	s_waitcnt vmcnt(14)
	v_mov_b32_e32 v2, v18
	v_mov_b32_e32 v1, v17
.LBB14_50:
	s_or_b64 exec, exec, s[0:1]
                                        ; implicit-def: $vgpr17_vgpr18
.LBB14_51:
	s_andn2_saveexec_b64 s[0:1], s[8:9]
	s_cbranch_execz .LBB14_53
; %bb.52:
	s_waitcnt vmcnt(14)
	v_cmp_lt_f32_e32 vcc, v17, v1
	v_cndmask_b32_e32 v1, v1, v17, vcc
	v_cmp_lt_f32_e32 vcc, v2, v18
	v_cndmask_b32_e32 v2, v2, v18, vcc
	s_or_b64 s[2:3], s[2:3], exec
.LBB14_53:
	s_or_b64 exec, exec, s[0:1]
	s_waitcnt vmcnt(13)
	v_and_b32_e32 v17, 1, v39
	v_cmp_eq_u32_e32 vcc, 1, v17
	s_and_b64 s[8:9], s[2:3], vcc
	s_mov_b64 s[0:1], -1
	s_xor_b64 s[8:9], s[8:9], -1
	s_and_saveexec_b64 s[12:13], s[8:9]
	s_xor_b64 s[8:9], exec, s[12:13]
	s_cbranch_execz .LBB14_57
; %bb.54:
	s_xor_b64 s[12:13], s[2:3], -1
	s_and_saveexec_b64 s[2:3], s[12:13]
	s_cbranch_execz .LBB14_56
; %bb.55:
	s_orn2_b64 s[0:1], vcc, exec
	s_waitcnt vmcnt(12)
	v_mov_b32_e32 v2, v16
	v_mov_b32_e32 v1, v15
.LBB14_56:
	s_or_b64 exec, exec, s[2:3]
                                        ; implicit-def: $vgpr15_vgpr16
.LBB14_57:
	s_andn2_saveexec_b64 s[2:3], s[8:9]
	s_cbranch_execz .LBB14_59
; %bb.58:
	s_waitcnt vmcnt(12)
	v_cmp_lt_f32_e32 vcc, v15, v1
	v_cndmask_b32_e32 v1, v1, v15, vcc
	v_cmp_lt_f32_e32 vcc, v2, v16
	v_cndmask_b32_e32 v2, v2, v16, vcc
	s_or_b64 s[0:1], s[0:1], exec
.LBB14_59:
	s_or_b64 exec, exec, s[2:3]
	s_waitcnt vmcnt(11)
	v_and_b32_e32 v15, 1, v38
	v_cmp_eq_u32_e32 vcc, 1, v15
	s_and_b64 s[8:9], s[0:1], vcc
	s_mov_b64 s[2:3], -1
	s_xor_b64 s[8:9], s[8:9], -1
	s_and_saveexec_b64 s[12:13], s[8:9]
	s_xor_b64 s[8:9], exec, s[12:13]
	s_cbranch_execz .LBB14_63
; %bb.60:
	s_xor_b64 s[12:13], s[0:1], -1
	s_and_saveexec_b64 s[0:1], s[12:13]
	s_cbranch_execz .LBB14_62
; %bb.61:
	s_orn2_b64 s[2:3], vcc, exec
	s_waitcnt vmcnt(10)
	v_mov_b32_e32 v2, v14
	v_mov_b32_e32 v1, v13
.LBB14_62:
	s_or_b64 exec, exec, s[0:1]
                                        ; implicit-def: $vgpr13_vgpr14
.LBB14_63:
	s_andn2_saveexec_b64 s[0:1], s[8:9]
	s_cbranch_execz .LBB14_65
; %bb.64:
	s_waitcnt vmcnt(10)
	v_cmp_lt_f32_e32 vcc, v13, v1
	v_cndmask_b32_e32 v1, v1, v13, vcc
	v_cmp_lt_f32_e32 vcc, v2, v14
	v_cndmask_b32_e32 v2, v2, v14, vcc
	s_or_b64 s[2:3], s[2:3], exec
.LBB14_65:
	s_or_b64 exec, exec, s[0:1]
	s_waitcnt vmcnt(9)
	v_and_b32_e32 v13, 1, v37
	v_cmp_eq_u32_e32 vcc, 1, v13
	s_and_b64 s[8:9], s[2:3], vcc
	s_mov_b64 s[0:1], -1
	s_xor_b64 s[8:9], s[8:9], -1
	s_and_saveexec_b64 s[12:13], s[8:9]
	s_xor_b64 s[8:9], exec, s[12:13]
	s_cbranch_execz .LBB14_69
; %bb.66:
	s_xor_b64 s[12:13], s[2:3], -1
	s_and_saveexec_b64 s[2:3], s[12:13]
	s_cbranch_execz .LBB14_68
; %bb.67:
	s_orn2_b64 s[0:1], vcc, exec
	s_waitcnt vmcnt(8)
	v_mov_b32_e32 v2, v12
	v_mov_b32_e32 v1, v11
.LBB14_68:
	s_or_b64 exec, exec, s[2:3]
                                        ; implicit-def: $vgpr11_vgpr12
.LBB14_69:
	s_andn2_saveexec_b64 s[2:3], s[8:9]
	s_cbranch_execz .LBB14_71
; %bb.70:
	s_waitcnt vmcnt(8)
	v_cmp_lt_f32_e32 vcc, v11, v1
	v_cndmask_b32_e32 v1, v1, v11, vcc
	v_cmp_lt_f32_e32 vcc, v2, v12
	v_cndmask_b32_e32 v2, v2, v12, vcc
	s_or_b64 s[0:1], s[0:1], exec
.LBB14_71:
	s_or_b64 exec, exec, s[2:3]
	s_waitcnt vmcnt(7)
	v_and_b32_e32 v11, 1, v36
	v_cmp_eq_u32_e32 vcc, 1, v11
	s_and_b64 s[8:9], s[0:1], vcc
	s_mov_b64 s[2:3], -1
	s_xor_b64 s[8:9], s[8:9], -1
	s_and_saveexec_b64 s[12:13], s[8:9]
	s_xor_b64 s[8:9], exec, s[12:13]
	s_cbranch_execz .LBB14_75
; %bb.72:
	s_xor_b64 s[12:13], s[0:1], -1
	s_and_saveexec_b64 s[0:1], s[12:13]
	s_cbranch_execz .LBB14_74
; %bb.73:
	s_orn2_b64 s[2:3], vcc, exec
	s_waitcnt vmcnt(6)
	v_mov_b32_e32 v2, v10
	v_mov_b32_e32 v1, v9
.LBB14_74:
	s_or_b64 exec, exec, s[0:1]
                                        ; implicit-def: $vgpr9_vgpr10
.LBB14_75:
	s_andn2_saveexec_b64 s[0:1], s[8:9]
	s_cbranch_execz .LBB14_77
; %bb.76:
	s_waitcnt vmcnt(6)
	v_cmp_lt_f32_e32 vcc, v9, v1
	v_cndmask_b32_e32 v1, v1, v9, vcc
	v_cmp_lt_f32_e32 vcc, v2, v10
	v_cndmask_b32_e32 v2, v2, v10, vcc
	s_or_b64 s[2:3], s[2:3], exec
.LBB14_77:
	s_or_b64 exec, exec, s[0:1]
	s_waitcnt vmcnt(5)
	v_and_b32_e32 v9, 1, v35
	v_cmp_eq_u32_e32 vcc, 1, v9
	s_and_b64 s[8:9], s[2:3], vcc
	s_mov_b64 s[0:1], -1
	s_xor_b64 s[8:9], s[8:9], -1
	s_and_saveexec_b64 s[12:13], s[8:9]
	s_xor_b64 s[8:9], exec, s[12:13]
	s_cbranch_execz .LBB14_81
; %bb.78:
	s_xor_b64 s[12:13], s[2:3], -1
	s_and_saveexec_b64 s[2:3], s[12:13]
	s_cbranch_execz .LBB14_80
; %bb.79:
	s_orn2_b64 s[0:1], vcc, exec
	s_waitcnt vmcnt(4)
	v_mov_b32_e32 v2, v8
	v_mov_b32_e32 v1, v7
.LBB14_80:
	s_or_b64 exec, exec, s[2:3]
                                        ; implicit-def: $vgpr7_vgpr8
.LBB14_81:
	s_andn2_saveexec_b64 s[2:3], s[8:9]
	s_cbranch_execz .LBB14_83
; %bb.82:
	s_waitcnt vmcnt(4)
	v_cmp_lt_f32_e32 vcc, v7, v1
	v_cndmask_b32_e32 v1, v1, v7, vcc
	v_cmp_lt_f32_e32 vcc, v2, v8
	v_cndmask_b32_e32 v2, v2, v8, vcc
	s_or_b64 s[0:1], s[0:1], exec
.LBB14_83:
	s_or_b64 exec, exec, s[2:3]
	s_waitcnt vmcnt(3)
	v_and_b32_e32 v7, 1, v34
	v_cmp_eq_u32_e32 vcc, 1, v7
	s_and_b64 s[8:9], s[0:1], vcc
	s_mov_b64 s[2:3], -1
	s_xor_b64 s[8:9], s[8:9], -1
	s_and_saveexec_b64 s[12:13], s[8:9]
	s_xor_b64 s[8:9], exec, s[12:13]
	s_cbranch_execz .LBB14_87
; %bb.84:
	s_xor_b64 s[12:13], s[0:1], -1
	s_and_saveexec_b64 s[0:1], s[12:13]
	s_cbranch_execz .LBB14_86
; %bb.85:
	s_orn2_b64 s[2:3], vcc, exec
	s_waitcnt vmcnt(2)
	v_mov_b32_e32 v2, v6
	v_mov_b32_e32 v1, v5
.LBB14_86:
	s_or_b64 exec, exec, s[0:1]
                                        ; implicit-def: $vgpr5_vgpr6
.LBB14_87:
	s_andn2_saveexec_b64 s[0:1], s[8:9]
	s_cbranch_execz .LBB14_89
; %bb.88:
	s_waitcnt vmcnt(2)
	v_cmp_lt_f32_e32 vcc, v5, v1
	v_cndmask_b32_e32 v1, v1, v5, vcc
	v_cmp_lt_f32_e32 vcc, v2, v6
	v_cndmask_b32_e32 v2, v2, v6, vcc
	s_or_b64 s[2:3], s[2:3], exec
.LBB14_89:
	s_or_b64 exec, exec, s[0:1]
	s_waitcnt vmcnt(1)
	v_and_b32_e32 v5, 1, v33
	v_cmp_eq_u32_e32 vcc, 1, v5
	s_and_b64 s[0:1], s[2:3], vcc
	s_xor_b64 s[0:1], s[0:1], -1
                                        ; implicit-def: $vgpr5
	s_and_saveexec_b64 s[8:9], s[0:1]
	s_xor_b64 s[0:1], exec, s[8:9]
	s_cbranch_execz .LBB14_93
; %bb.90:
	s_xor_b64 s[8:9], s[2:3], -1
	v_mov_b32_e32 v5, 1
	s_and_saveexec_b64 s[2:3], s[8:9]
	s_cbranch_execz .LBB14_92
; %bb.91:
	s_waitcnt vmcnt(0)
	v_mov_b32_e32 v2, v4
	v_mov_b32_e32 v1, v3
	;; [unrolled: 1-line block ×3, first 2 shown]
.LBB14_92:
	s_or_b64 exec, exec, s[2:3]
                                        ; implicit-def: $vgpr3_vgpr4
.LBB14_93:
	s_andn2_saveexec_b64 s[0:1], s[0:1]
	s_cbranch_execz .LBB14_95
; %bb.94:
	s_waitcnt vmcnt(0)
	v_cmp_lt_f32_e32 vcc, v3, v1
	v_cndmask_b32_e32 v1, v1, v3, vcc
	v_cmp_lt_f32_e32 vcc, v2, v4
	v_cndmask_b32_e32 v2, v2, v4, vcc
	v_mov_b32_e32 v5, 1
.LBB14_95:
	s_or_b64 exec, exec, s[0:1]
	v_and_b32_e32 v7, 0xff, v5
	v_and_b32_e32 v5, 1, v5
	v_cmp_eq_u32_e64 s[0:1], 1, v5
	v_mov_b32_dpp v6, v7 quad_perm:[1,0,3,2] row_mask:0xf bank_mask:0xf bound_ctrl:1
	v_and_b32_e32 v6, 1, v6
	v_cmp_eq_u32_e32 vcc, 1, v6
	s_and_b64 s[0:1], vcc, s[0:1]
	s_waitcnt vmcnt(0)
	v_mov_b32_dpp v3, v1 quad_perm:[1,0,3,2] row_mask:0xf bank_mask:0xf bound_ctrl:1
	v_mov_b32_dpp v4, v2 quad_perm:[1,0,3,2] row_mask:0xf bank_mask:0xf bound_ctrl:1
	s_xor_b64 s[0:1], s[0:1], -1
                                        ; implicit-def: $vgpr6
	s_and_saveexec_b64 s[2:3], s[0:1]
	s_xor_b64 s[0:1], exec, s[2:3]
	s_cbranch_execz .LBB14_99
; %bb.96:
	s_xor_b64 s[8:9], vcc, -1
	v_mov_b32_e32 v6, 1
	s_and_saveexec_b64 s[2:3], s[8:9]
; %bb.97:
	v_mov_b32_e32 v4, v2
	v_mov_b32_e32 v3, v1
	;; [unrolled: 1-line block ×3, first 2 shown]
; %bb.98:
	s_or_b64 exec, exec, s[2:3]
                                        ; implicit-def: $vgpr1
.LBB14_99:
	s_andn2_saveexec_b64 s[0:1], s[0:1]
; %bb.100:
	v_cmp_lt_f32_e32 vcc, v1, v3
	v_cndmask_b32_e32 v3, v3, v1, vcc
	v_cmp_gt_f32_e32 vcc, v2, v4
	v_cndmask_b32_e32 v4, v4, v2, vcc
	v_mov_b32_e32 v6, 1
; %bb.101:
	s_or_b64 exec, exec, s[0:1]
	s_nop 0
	v_mov_b32_dpp v2, v6 quad_perm:[2,3,0,1] row_mask:0xf bank_mask:0xf bound_ctrl:1
	v_and_b32_e32 v7, 1, v2
	v_and_b32_e32 v2, v2, v6
	;; [unrolled: 1-line block ×3, first 2 shown]
	v_mov_b32_dpp v1, v3 quad_perm:[2,3,0,1] row_mask:0xf bank_mask:0xf bound_ctrl:1
	v_mov_b32_dpp v5, v4 quad_perm:[2,3,0,1] row_mask:0xf bank_mask:0xf bound_ctrl:1
	v_cmp_ne_u32_e32 vcc, 1, v7
	v_cmp_ne_u32_e64 s[0:1], 1, v2
                                        ; implicit-def: $vgpr7
	s_and_saveexec_b64 s[2:3], s[0:1]
	s_xor_b64 s[0:1], exec, s[2:3]
	s_cbranch_execz .LBB14_105
; %bb.102:
	v_mov_b32_e32 v7, 1
	s_and_saveexec_b64 s[2:3], vcc
; %bb.103:
	v_mov_b32_e32 v5, v4
	v_mov_b32_e32 v1, v3
	;; [unrolled: 1-line block ×3, first 2 shown]
; %bb.104:
	s_or_b64 exec, exec, s[2:3]
                                        ; implicit-def: $vgpr3
                                        ; implicit-def: $vgpr4
.LBB14_105:
	s_andn2_saveexec_b64 s[0:1], s[0:1]
; %bb.106:
	v_cmp_lt_f32_e32 vcc, v3, v1
	v_cndmask_b32_e32 v1, v1, v3, vcc
	v_cmp_gt_f32_e32 vcc, v4, v5
	v_cndmask_b32_e32 v5, v5, v4, vcc
	v_mov_b32_e32 v7, 1
; %bb.107:
	s_or_b64 exec, exec, s[0:1]
	s_nop 0
	v_mov_b32_dpp v4, v7 row_ror:4 row_mask:0xf bank_mask:0xf bound_ctrl:1
	v_and_b32_e32 v6, 1, v4
	v_and_b32_e32 v4, v4, v7
	;; [unrolled: 1-line block ×3, first 2 shown]
	v_mov_b32_dpp v2, v1 row_ror:4 row_mask:0xf bank_mask:0xf bound_ctrl:1
	v_mov_b32_dpp v3, v5 row_ror:4 row_mask:0xf bank_mask:0xf bound_ctrl:1
	v_cmp_ne_u32_e32 vcc, 1, v6
	v_cmp_ne_u32_e64 s[0:1], 1, v4
                                        ; implicit-def: $vgpr6
	s_and_saveexec_b64 s[2:3], s[0:1]
	s_xor_b64 s[0:1], exec, s[2:3]
	s_cbranch_execz .LBB14_111
; %bb.108:
	v_mov_b32_e32 v6, 1
	s_and_saveexec_b64 s[2:3], vcc
; %bb.109:
	v_mov_b32_e32 v3, v5
	v_mov_b32_e32 v2, v1
	;; [unrolled: 1-line block ×3, first 2 shown]
; %bb.110:
	s_or_b64 exec, exec, s[2:3]
                                        ; implicit-def: $vgpr1
                                        ; implicit-def: $vgpr5
.LBB14_111:
	s_andn2_saveexec_b64 s[0:1], s[0:1]
; %bb.112:
	v_cmp_lt_f32_e32 vcc, v1, v2
	v_cndmask_b32_e32 v2, v2, v1, vcc
	v_cmp_gt_f32_e32 vcc, v5, v3
	v_cndmask_b32_e32 v3, v3, v5, vcc
	v_mov_b32_e32 v6, 1
; %bb.113:
	s_or_b64 exec, exec, s[0:1]
	s_nop 0
	v_mov_b32_dpp v5, v6 row_ror:8 row_mask:0xf bank_mask:0xf bound_ctrl:1
	v_and_b32_e32 v7, 1, v5
	v_and_b32_e32 v5, v5, v6
	;; [unrolled: 1-line block ×3, first 2 shown]
	v_mov_b32_dpp v1, v2 row_ror:8 row_mask:0xf bank_mask:0xf bound_ctrl:1
	v_mov_b32_dpp v4, v3 row_ror:8 row_mask:0xf bank_mask:0xf bound_ctrl:1
	v_cmp_ne_u32_e32 vcc, 1, v7
	v_cmp_ne_u32_e64 s[0:1], 1, v5
                                        ; implicit-def: $vgpr5
	s_and_saveexec_b64 s[2:3], s[0:1]
	s_xor_b64 s[0:1], exec, s[2:3]
	s_cbranch_execz .LBB14_117
; %bb.114:
	v_mov_b32_e32 v5, 1
	s_and_saveexec_b64 s[2:3], vcc
; %bb.115:
	v_mov_b32_e32 v4, v3
	v_mov_b32_e32 v1, v2
	;; [unrolled: 1-line block ×3, first 2 shown]
; %bb.116:
	s_or_b64 exec, exec, s[2:3]
                                        ; implicit-def: $vgpr2
                                        ; implicit-def: $vgpr3
.LBB14_117:
	s_andn2_saveexec_b64 s[0:1], s[0:1]
; %bb.118:
	v_cmp_lt_f32_e32 vcc, v2, v1
	v_cndmask_b32_e32 v1, v1, v2, vcc
	v_cmp_gt_f32_e32 vcc, v3, v4
	v_cndmask_b32_e32 v4, v4, v3, vcc
	v_mov_b32_e32 v5, 1
; %bb.119:
	s_or_b64 exec, exec, s[0:1]
	s_nop 0
	v_mov_b32_dpp v6, v5 row_bcast:15 row_mask:0xf bank_mask:0xf bound_ctrl:1
	v_and_b32_e32 v7, 1, v6
	v_and_b32_e32 v6, v6, v5
	;; [unrolled: 1-line block ×3, first 2 shown]
	v_mov_b32_dpp v2, v1 row_bcast:15 row_mask:0xf bank_mask:0xf bound_ctrl:1
	v_mov_b32_dpp v3, v4 row_bcast:15 row_mask:0xf bank_mask:0xf bound_ctrl:1
	v_cmp_ne_u32_e32 vcc, 1, v7
	v_cmp_ne_u32_e64 s[0:1], 1, v6
                                        ; implicit-def: $vgpr6
	s_and_saveexec_b64 s[2:3], s[0:1]
	s_xor_b64 s[0:1], exec, s[2:3]
	s_cbranch_execz .LBB14_123
; %bb.120:
	v_mov_b32_e32 v6, 1
	s_and_saveexec_b64 s[2:3], vcc
; %bb.121:
	v_mov_b32_e32 v3, v4
	v_mov_b32_e32 v2, v1
	;; [unrolled: 1-line block ×3, first 2 shown]
; %bb.122:
	s_or_b64 exec, exec, s[2:3]
                                        ; implicit-def: $vgpr1
                                        ; implicit-def: $vgpr4
.LBB14_123:
	s_andn2_saveexec_b64 s[0:1], s[0:1]
; %bb.124:
	v_cmp_lt_f32_e32 vcc, v1, v2
	v_cndmask_b32_e32 v2, v2, v1, vcc
	v_cmp_gt_f32_e32 vcc, v4, v3
	v_cndmask_b32_e32 v3, v3, v4, vcc
	v_mov_b32_e32 v6, 1
; %bb.125:
	s_or_b64 exec, exec, s[0:1]
	s_nop 0
	v_mov_b32_dpp v5, v6 row_bcast:31 row_mask:0xf bank_mask:0xf bound_ctrl:1
	v_and_b32_e32 v7, 1, v5
	v_and_b32_e32 v5, v5, v6
	;; [unrolled: 1-line block ×3, first 2 shown]
	v_mov_b32_dpp v1, v2 row_bcast:31 row_mask:0xf bank_mask:0xf bound_ctrl:1
	v_mov_b32_dpp v4, v3 row_bcast:31 row_mask:0xf bank_mask:0xf bound_ctrl:1
	v_cmp_ne_u32_e32 vcc, 1, v7
	v_cmp_ne_u32_e64 s[0:1], 1, v5
                                        ; implicit-def: $vgpr5
	s_and_saveexec_b64 s[2:3], s[0:1]
	s_xor_b64 s[0:1], exec, s[2:3]
	s_cbranch_execz .LBB14_129
; %bb.126:
	v_mov_b32_e32 v5, 1
	s_and_saveexec_b64 s[2:3], vcc
; %bb.127:
	v_mov_b32_e32 v4, v3
	v_mov_b32_e32 v1, v2
	;; [unrolled: 1-line block ×3, first 2 shown]
; %bb.128:
	s_or_b64 exec, exec, s[2:3]
                                        ; implicit-def: $vgpr2
                                        ; implicit-def: $vgpr3
.LBB14_129:
	s_andn2_saveexec_b64 s[0:1], s[0:1]
; %bb.130:
	v_cmp_lt_f32_e32 vcc, v2, v1
	v_cndmask_b32_e32 v1, v1, v2, vcc
	v_cmp_gt_f32_e32 vcc, v3, v4
	v_cndmask_b32_e32 v4, v4, v3, vcc
	v_mov_b32_e32 v5, 1
; %bb.131:
	s_or_b64 exec, exec, s[0:1]
	v_mbcnt_lo_u32_b32 v2, -1, 0
	v_mbcnt_hi_u32_b32 v3, -1, v2
	v_lshlrev_b32_e32 v7, 2, v3
	v_or_b32_e32 v2, 0xfc, v7
	ds_bpermute_b32 v33, v2, v5
	ds_bpermute_b32 v1, v2, v1
	;; [unrolled: 1-line block ×3, first 2 shown]
	v_cmp_eq_u32_e32 vcc, 0, v3
	s_and_saveexec_b64 s[0:1], vcc
	s_cbranch_execz .LBB14_133
; %bb.132:
	v_lshrrev_b32_e32 v4, 6, v0
	v_mul_u32_u24_e32 v4, 12, v4
	s_waitcnt lgkmcnt(2)
	ds_write_b8 v4, v33 offset:32
	s_waitcnt lgkmcnt(1)
	ds_write2_b32 v4, v1, v2 offset0:9 offset1:10
.LBB14_133:
	s_or_b64 exec, exec, s[0:1]
	v_cmp_gt_u32_e32 vcc, 64, v0
	s_waitcnt lgkmcnt(0)
	s_barrier
	s_and_saveexec_b64 s[0:1], vcc
	s_cbranch_execz .LBB14_141
; %bb.134:
	v_and_b32_e32 v1, 1, v3
	v_mul_u32_u24_e32 v1, 12, v1
	ds_read_u8 v6, v1 offset:32
	ds_read2_b32 v[3:4], v1 offset0:9 offset1:10
	v_or_b32_e32 v2, 4, v7
	s_waitcnt lgkmcnt(1)
	v_and_b32_e32 v1, 0xff, v6
	ds_bpermute_b32 v5, v2, v1
	s_waitcnt lgkmcnt(1)
	ds_bpermute_b32 v1, v2, v3
	ds_bpermute_b32 v2, v2, v4
	s_waitcnt lgkmcnt(2)
	v_and_b32_e32 v7, v6, v5
	v_and_b32_e32 v7, 1, v7
	v_cmp_eq_u32_e32 vcc, 1, v7
	s_and_saveexec_b64 s[2:3], vcc
	s_xor_b64 s[2:3], exec, s[2:3]
	s_cbranch_execz .LBB14_136
; %bb.135:
	s_waitcnt lgkmcnt(1)
	v_cmp_gt_f32_e32 vcc, v3, v1
	v_cndmask_b32_e32 v1, v3, v1, vcc
	s_waitcnt lgkmcnt(0)
	v_cmp_lt_f32_e32 vcc, v4, v2
	v_cndmask_b32_e32 v2, v4, v2, vcc
                                        ; implicit-def: $vgpr4
                                        ; implicit-def: $vgpr5
                                        ; implicit-def: $vgpr6
.LBB14_136:
	s_or_saveexec_b64 s[2:3], s[2:3]
	v_mov_b32_e32 v33, 1
	s_xor_b64 exec, exec, s[2:3]
	s_cbranch_execz .LBB14_140
; %bb.137:
	v_and_b32_e32 v6, 1, v6
	v_cmp_eq_u32_e32 vcc, 1, v6
	s_and_saveexec_b64 s[8:9], vcc
	s_cbranch_execz .LBB14_139
; %bb.138:
	v_mov_b32_e32 v5, 1
	s_waitcnt lgkmcnt(0)
	v_mov_b32_e32 v2, v4
	v_mov_b32_e32 v1, v3
.LBB14_139:
	s_or_b64 exec, exec, s[8:9]
	v_mov_b32_e32 v33, v5
.LBB14_140:
	s_or_b64 exec, exec, s[2:3]
.LBB14_141:
	s_or_b64 exec, exec, s[0:1]
	s_mov_b64 s[0:1], 0
	s_branch .LBB14_239
.LBB14_142:
	s_mov_b64 s[18:19], 0
                                        ; implicit-def: $vgpr4
                                        ; implicit-def: $vgpr5
	s_cbranch_execnz .LBB14_779
	s_branch .LBB14_970
.LBB14_143:
	s_mov_b64 s[18:19], 0
                                        ; implicit-def: $vgpr4
                                        ; implicit-def: $vgpr5
	s_cbranch_execnz .LBB14_607
	s_branch .LBB14_675
.LBB14_144:
	s_mov_b64 s[42:43], -1
.LBB14_145:
	s_mov_b64 s[18:19], 0
                                        ; implicit-def: $vgpr4
                                        ; implicit-def: $vgpr5
	s_and_b64 vcc, exec, s[42:43]
	s_cbranch_vccz .LBB14_486
.LBB14_146:
	s_cmp_eq_u32 s46, 8
	s_cbranch_scc0 .LBB14_237
; %bb.147:
	s_lshl_b32 s10, s6, 10
	s_lshr_b64 s[0:1], s[38:39], 10
	s_mul_i32 s2, s6, 0x3000
	s_mul_hi_u32 s3, s10, 12
	s_add_u32 s16, s36, s2
	s_mov_b32 s7, 0
	s_addc_u32 s17, s37, s3
	s_cmp_lg_u64 s[0:1], s[6:7]
	s_cbranch_scc0 .LBB14_286
; %bb.148:
	s_waitcnt lgkmcnt(2)
	v_mad_u64_u32 v[3:4], s[0:1], v0, 12, s[16:17]
	global_load_ubyte v24, v[3:4], off
	global_load_ubyte v23, v[3:4], off offset:1536
	global_load_dwordx2 v[15:16], v[3:4], off offset:1540
	s_waitcnt lgkmcnt(0)
	global_load_dwordx2 v[1:2], v[3:4], off offset:4
	v_add_co_u32_e32 v5, vcc, 0x1000, v3
	v_addc_co_u32_e32 v6, vcc, 0, v4, vcc
	global_load_ubyte v22, v[3:4], off offset:3072
	global_load_dwordx2 v[13:14], v[3:4], off offset:3076
	global_load_ubyte v21, v[5:6], off offset:512
	global_load_dwordx2 v[11:12], v[5:6], off offset:516
	;; [unrolled: 2-line block ×4, first 2 shown]
	v_add_co_u32_e32 v25, vcc, 0x2000, v3
	v_addc_co_u32_e32 v26, vcc, 0, v4, vcc
	global_load_ubyte v18, v[25:26], off offset:1024
	global_load_dwordx2 v[5:6], v[25:26], off offset:1028
	global_load_ubyte v17, v[25:26], off offset:2560
	global_load_dwordx2 v[3:4], v[25:26], off offset:2564
	s_waitcnt vmcnt(14)
	v_and_b32_e32 v25, v23, v24
	v_and_b32_e32 v25, 1, v25
	v_cmp_eq_u32_e32 vcc, 1, v25
	s_and_saveexec_b64 s[0:1], vcc
	s_xor_b64 s[0:1], exec, s[0:1]
	s_cbranch_execz .LBB14_150
; %bb.149:
	s_waitcnt vmcnt(12)
	v_cmp_lt_f32_e32 vcc, v15, v1
	v_cndmask_b32_e32 v1, v1, v15, vcc
	v_cmp_lt_f32_e32 vcc, v2, v16
	v_cndmask_b32_e32 v2, v2, v16, vcc
                                        ; implicit-def: $vgpr16
                                        ; implicit-def: $vgpr24
                                        ; implicit-def: $vgpr23
.LBB14_150:
	s_or_saveexec_b64 s[0:1], s[0:1]
	s_mov_b64 s[8:9], -1
	s_xor_b64 exec, exec, s[0:1]
	s_cbranch_execz .LBB14_154
; %bb.151:
	v_and_b32_e32 v24, 1, v24
	v_cmp_eq_u32_e32 vcc, 1, v24
	s_mov_b64 s[2:3], -1
	s_xor_b64 s[12:13], vcc, -1
	s_and_saveexec_b64 s[8:9], s[12:13]
	s_cbranch_execz .LBB14_153
; %bb.152:
	s_waitcnt vmcnt(12)
	v_and_b32_e32 v1, 1, v23
	v_cmp_eq_u32_e32 vcc, 1, v1
	s_orn2_b64 s[2:3], vcc, exec
	v_mov_b32_e32 v2, v16
	v_mov_b32_e32 v1, v15
.LBB14_153:
	s_or_b64 exec, exec, s[8:9]
	s_orn2_b64 s[8:9], s[2:3], exec
.LBB14_154:
	s_or_b64 exec, exec, s[0:1]
	s_waitcnt vmcnt(11)
	v_and_b32_e32 v15, 1, v22
	v_cmp_eq_u32_e32 vcc, 1, v15
	s_and_b64 s[0:1], s[8:9], vcc
	s_xor_b64 s[0:1], s[0:1], -1
                                        ; implicit-def: $sgpr2_sgpr3
	s_and_saveexec_b64 s[12:13], s[0:1]
	s_xor_b64 s[0:1], exec, s[12:13]
	s_cbranch_execz .LBB14_158
; %bb.155:
	s_xor_b64 s[12:13], s[8:9], -1
	s_mov_b64 s[2:3], -1
	s_and_saveexec_b64 s[8:9], s[12:13]
	s_cbranch_execz .LBB14_157
; %bb.156:
	s_orn2_b64 s[2:3], vcc, exec
	s_waitcnt vmcnt(10)
	v_mov_b32_e32 v2, v14
	v_mov_b32_e32 v1, v13
.LBB14_157:
	s_or_b64 exec, exec, s[8:9]
                                        ; implicit-def: $vgpr13_vgpr14
.LBB14_158:
	s_andn2_saveexec_b64 s[0:1], s[0:1]
	s_cbranch_execz .LBB14_160
; %bb.159:
	s_waitcnt vmcnt(10)
	v_cmp_lt_f32_e32 vcc, v13, v1
	v_cndmask_b32_e32 v1, v1, v13, vcc
	v_cmp_lt_f32_e32 vcc, v2, v14
	v_cndmask_b32_e32 v2, v2, v14, vcc
	s_or_b64 s[2:3], s[2:3], exec
.LBB14_160:
	s_or_b64 exec, exec, s[0:1]
	s_waitcnt vmcnt(9)
	v_and_b32_e32 v13, 1, v21
	v_cmp_eq_u32_e32 vcc, 1, v13
	s_and_b64 s[8:9], s[2:3], vcc
	s_mov_b64 s[0:1], -1
	s_xor_b64 s[8:9], s[8:9], -1
	s_and_saveexec_b64 s[12:13], s[8:9]
	s_xor_b64 s[8:9], exec, s[12:13]
	s_cbranch_execz .LBB14_164
; %bb.161:
	s_xor_b64 s[12:13], s[2:3], -1
	s_and_saveexec_b64 s[2:3], s[12:13]
	s_cbranch_execz .LBB14_163
; %bb.162:
	s_orn2_b64 s[0:1], vcc, exec
	s_waitcnt vmcnt(8)
	v_mov_b32_e32 v2, v12
	v_mov_b32_e32 v1, v11
.LBB14_163:
	s_or_b64 exec, exec, s[2:3]
                                        ; implicit-def: $vgpr11_vgpr12
.LBB14_164:
	s_andn2_saveexec_b64 s[2:3], s[8:9]
	s_cbranch_execz .LBB14_166
; %bb.165:
	s_waitcnt vmcnt(8)
	v_cmp_lt_f32_e32 vcc, v11, v1
	v_cndmask_b32_e32 v1, v1, v11, vcc
	v_cmp_lt_f32_e32 vcc, v2, v12
	v_cndmask_b32_e32 v2, v2, v12, vcc
	s_or_b64 s[0:1], s[0:1], exec
.LBB14_166:
	s_or_b64 exec, exec, s[2:3]
	s_waitcnt vmcnt(7)
	v_and_b32_e32 v11, 1, v20
	v_cmp_eq_u32_e32 vcc, 1, v11
	s_and_b64 s[8:9], s[0:1], vcc
	s_mov_b64 s[2:3], -1
	s_xor_b64 s[8:9], s[8:9], -1
	s_and_saveexec_b64 s[12:13], s[8:9]
	s_xor_b64 s[8:9], exec, s[12:13]
	s_cbranch_execz .LBB14_170
; %bb.167:
	s_xor_b64 s[12:13], s[0:1], -1
	s_and_saveexec_b64 s[0:1], s[12:13]
	s_cbranch_execz .LBB14_169
; %bb.168:
	s_orn2_b64 s[2:3], vcc, exec
	s_waitcnt vmcnt(6)
	v_mov_b32_e32 v2, v10
	v_mov_b32_e32 v1, v9
.LBB14_169:
	s_or_b64 exec, exec, s[0:1]
                                        ; implicit-def: $vgpr9_vgpr10
.LBB14_170:
	s_andn2_saveexec_b64 s[0:1], s[8:9]
	s_cbranch_execz .LBB14_172
; %bb.171:
	s_waitcnt vmcnt(6)
	v_cmp_lt_f32_e32 vcc, v9, v1
	v_cndmask_b32_e32 v1, v1, v9, vcc
	v_cmp_lt_f32_e32 vcc, v2, v10
	v_cndmask_b32_e32 v2, v2, v10, vcc
	s_or_b64 s[2:3], s[2:3], exec
.LBB14_172:
	s_or_b64 exec, exec, s[0:1]
	s_waitcnt vmcnt(5)
	v_and_b32_e32 v9, 1, v19
	v_cmp_eq_u32_e32 vcc, 1, v9
	s_and_b64 s[8:9], s[2:3], vcc
	s_mov_b64 s[0:1], -1
	s_xor_b64 s[8:9], s[8:9], -1
	s_and_saveexec_b64 s[12:13], s[8:9]
	s_xor_b64 s[8:9], exec, s[12:13]
	s_cbranch_execz .LBB14_176
; %bb.173:
	s_xor_b64 s[12:13], s[2:3], -1
	s_and_saveexec_b64 s[2:3], s[12:13]
	s_cbranch_execz .LBB14_175
; %bb.174:
	s_orn2_b64 s[0:1], vcc, exec
	s_waitcnt vmcnt(4)
	v_mov_b32_e32 v2, v8
	v_mov_b32_e32 v1, v7
.LBB14_175:
	s_or_b64 exec, exec, s[2:3]
                                        ; implicit-def: $vgpr7_vgpr8
.LBB14_176:
	s_andn2_saveexec_b64 s[2:3], s[8:9]
	s_cbranch_execz .LBB14_178
; %bb.177:
	s_waitcnt vmcnt(4)
	v_cmp_lt_f32_e32 vcc, v7, v1
	v_cndmask_b32_e32 v1, v1, v7, vcc
	v_cmp_lt_f32_e32 vcc, v2, v8
	v_cndmask_b32_e32 v2, v2, v8, vcc
	s_or_b64 s[0:1], s[0:1], exec
.LBB14_178:
	s_or_b64 exec, exec, s[2:3]
	s_waitcnt vmcnt(3)
	v_and_b32_e32 v7, 1, v18
	v_cmp_eq_u32_e32 vcc, 1, v7
	s_and_b64 s[8:9], s[0:1], vcc
	s_mov_b64 s[2:3], -1
	s_xor_b64 s[8:9], s[8:9], -1
	s_and_saveexec_b64 s[12:13], s[8:9]
	s_xor_b64 s[8:9], exec, s[12:13]
	s_cbranch_execz .LBB14_182
; %bb.179:
	s_xor_b64 s[12:13], s[0:1], -1
	s_and_saveexec_b64 s[0:1], s[12:13]
	s_cbranch_execz .LBB14_181
; %bb.180:
	s_orn2_b64 s[2:3], vcc, exec
	s_waitcnt vmcnt(2)
	v_mov_b32_e32 v2, v6
	v_mov_b32_e32 v1, v5
.LBB14_181:
	s_or_b64 exec, exec, s[0:1]
                                        ; implicit-def: $vgpr5_vgpr6
.LBB14_182:
	s_andn2_saveexec_b64 s[0:1], s[8:9]
	s_cbranch_execz .LBB14_184
; %bb.183:
	s_waitcnt vmcnt(2)
	v_cmp_lt_f32_e32 vcc, v5, v1
	v_cndmask_b32_e32 v1, v1, v5, vcc
	v_cmp_lt_f32_e32 vcc, v2, v6
	v_cndmask_b32_e32 v2, v2, v6, vcc
	s_or_b64 s[2:3], s[2:3], exec
.LBB14_184:
	s_or_b64 exec, exec, s[0:1]
	s_waitcnt vmcnt(1)
	v_and_b32_e32 v5, 1, v17
	v_cmp_eq_u32_e32 vcc, 1, v5
	s_and_b64 s[0:1], s[2:3], vcc
	s_xor_b64 s[0:1], s[0:1], -1
                                        ; implicit-def: $vgpr5
	s_and_saveexec_b64 s[8:9], s[0:1]
	s_xor_b64 s[0:1], exec, s[8:9]
	s_cbranch_execz .LBB14_188
; %bb.185:
	s_xor_b64 s[8:9], s[2:3], -1
	v_mov_b32_e32 v5, 1
	s_and_saveexec_b64 s[2:3], s[8:9]
	s_cbranch_execz .LBB14_187
; %bb.186:
	s_waitcnt vmcnt(0)
	v_mov_b32_e32 v2, v4
	v_mov_b32_e32 v1, v3
	;; [unrolled: 1-line block ×3, first 2 shown]
.LBB14_187:
	s_or_b64 exec, exec, s[2:3]
                                        ; implicit-def: $vgpr3_vgpr4
.LBB14_188:
	s_andn2_saveexec_b64 s[0:1], s[0:1]
	s_cbranch_execz .LBB14_190
; %bb.189:
	s_waitcnt vmcnt(0)
	v_cmp_lt_f32_e32 vcc, v3, v1
	v_cndmask_b32_e32 v1, v1, v3, vcc
	v_cmp_lt_f32_e32 vcc, v2, v4
	v_cndmask_b32_e32 v2, v2, v4, vcc
	v_mov_b32_e32 v5, 1
.LBB14_190:
	s_or_b64 exec, exec, s[0:1]
	v_and_b32_e32 v7, 0xff, v5
	v_and_b32_e32 v5, 1, v5
	v_cmp_eq_u32_e64 s[0:1], 1, v5
	v_mov_b32_dpp v6, v7 quad_perm:[1,0,3,2] row_mask:0xf bank_mask:0xf bound_ctrl:1
	v_and_b32_e32 v6, 1, v6
	v_cmp_eq_u32_e32 vcc, 1, v6
	s_and_b64 s[0:1], vcc, s[0:1]
	s_waitcnt vmcnt(0)
	v_mov_b32_dpp v3, v1 quad_perm:[1,0,3,2] row_mask:0xf bank_mask:0xf bound_ctrl:1
	v_mov_b32_dpp v4, v2 quad_perm:[1,0,3,2] row_mask:0xf bank_mask:0xf bound_ctrl:1
	s_xor_b64 s[0:1], s[0:1], -1
                                        ; implicit-def: $vgpr6
	s_and_saveexec_b64 s[2:3], s[0:1]
	s_xor_b64 s[0:1], exec, s[2:3]
	s_cbranch_execz .LBB14_194
; %bb.191:
	s_xor_b64 s[8:9], vcc, -1
	v_mov_b32_e32 v6, 1
	s_and_saveexec_b64 s[2:3], s[8:9]
; %bb.192:
	v_mov_b32_e32 v4, v2
	v_mov_b32_e32 v3, v1
	;; [unrolled: 1-line block ×3, first 2 shown]
; %bb.193:
	s_or_b64 exec, exec, s[2:3]
                                        ; implicit-def: $vgpr1
.LBB14_194:
	s_andn2_saveexec_b64 s[0:1], s[0:1]
; %bb.195:
	v_cmp_lt_f32_e32 vcc, v1, v3
	v_cndmask_b32_e32 v3, v3, v1, vcc
	v_cmp_gt_f32_e32 vcc, v2, v4
	v_cndmask_b32_e32 v4, v4, v2, vcc
	v_mov_b32_e32 v6, 1
; %bb.196:
	s_or_b64 exec, exec, s[0:1]
	s_nop 0
	v_mov_b32_dpp v2, v6 quad_perm:[2,3,0,1] row_mask:0xf bank_mask:0xf bound_ctrl:1
	v_and_b32_e32 v7, 1, v2
	v_and_b32_e32 v2, v2, v6
	;; [unrolled: 1-line block ×3, first 2 shown]
	v_mov_b32_dpp v1, v3 quad_perm:[2,3,0,1] row_mask:0xf bank_mask:0xf bound_ctrl:1
	v_mov_b32_dpp v5, v4 quad_perm:[2,3,0,1] row_mask:0xf bank_mask:0xf bound_ctrl:1
	v_cmp_ne_u32_e32 vcc, 1, v7
	v_cmp_ne_u32_e64 s[0:1], 1, v2
                                        ; implicit-def: $vgpr7
	s_and_saveexec_b64 s[2:3], s[0:1]
	s_xor_b64 s[0:1], exec, s[2:3]
	s_cbranch_execz .LBB14_200
; %bb.197:
	v_mov_b32_e32 v7, 1
	s_and_saveexec_b64 s[2:3], vcc
; %bb.198:
	v_mov_b32_e32 v5, v4
	v_mov_b32_e32 v1, v3
	;; [unrolled: 1-line block ×3, first 2 shown]
; %bb.199:
	s_or_b64 exec, exec, s[2:3]
                                        ; implicit-def: $vgpr3
                                        ; implicit-def: $vgpr4
.LBB14_200:
	s_andn2_saveexec_b64 s[0:1], s[0:1]
; %bb.201:
	v_cmp_lt_f32_e32 vcc, v3, v1
	v_cndmask_b32_e32 v1, v1, v3, vcc
	v_cmp_gt_f32_e32 vcc, v4, v5
	v_cndmask_b32_e32 v5, v5, v4, vcc
	v_mov_b32_e32 v7, 1
; %bb.202:
	s_or_b64 exec, exec, s[0:1]
	s_nop 0
	v_mov_b32_dpp v4, v7 row_ror:4 row_mask:0xf bank_mask:0xf bound_ctrl:1
	v_and_b32_e32 v6, 1, v4
	v_and_b32_e32 v4, v4, v7
	;; [unrolled: 1-line block ×3, first 2 shown]
	v_mov_b32_dpp v2, v1 row_ror:4 row_mask:0xf bank_mask:0xf bound_ctrl:1
	v_mov_b32_dpp v3, v5 row_ror:4 row_mask:0xf bank_mask:0xf bound_ctrl:1
	v_cmp_ne_u32_e32 vcc, 1, v6
	v_cmp_ne_u32_e64 s[0:1], 1, v4
                                        ; implicit-def: $vgpr6
	s_and_saveexec_b64 s[2:3], s[0:1]
	s_xor_b64 s[0:1], exec, s[2:3]
	s_cbranch_execz .LBB14_206
; %bb.203:
	v_mov_b32_e32 v6, 1
	s_and_saveexec_b64 s[2:3], vcc
; %bb.204:
	v_mov_b32_e32 v3, v5
	v_mov_b32_e32 v2, v1
	;; [unrolled: 1-line block ×3, first 2 shown]
; %bb.205:
	s_or_b64 exec, exec, s[2:3]
                                        ; implicit-def: $vgpr1
                                        ; implicit-def: $vgpr5
.LBB14_206:
	s_andn2_saveexec_b64 s[0:1], s[0:1]
; %bb.207:
	v_cmp_lt_f32_e32 vcc, v1, v2
	v_cndmask_b32_e32 v2, v2, v1, vcc
	v_cmp_gt_f32_e32 vcc, v5, v3
	v_cndmask_b32_e32 v3, v3, v5, vcc
	v_mov_b32_e32 v6, 1
; %bb.208:
	s_or_b64 exec, exec, s[0:1]
	s_nop 0
	v_mov_b32_dpp v5, v6 row_ror:8 row_mask:0xf bank_mask:0xf bound_ctrl:1
	v_and_b32_e32 v7, 1, v5
	v_and_b32_e32 v5, v5, v6
	;; [unrolled: 1-line block ×3, first 2 shown]
	v_mov_b32_dpp v1, v2 row_ror:8 row_mask:0xf bank_mask:0xf bound_ctrl:1
	v_mov_b32_dpp v4, v3 row_ror:8 row_mask:0xf bank_mask:0xf bound_ctrl:1
	v_cmp_ne_u32_e32 vcc, 1, v7
	v_cmp_ne_u32_e64 s[0:1], 1, v5
                                        ; implicit-def: $vgpr5
	s_and_saveexec_b64 s[2:3], s[0:1]
	s_xor_b64 s[0:1], exec, s[2:3]
	s_cbranch_execz .LBB14_212
; %bb.209:
	v_mov_b32_e32 v5, 1
	s_and_saveexec_b64 s[2:3], vcc
; %bb.210:
	v_mov_b32_e32 v4, v3
	v_mov_b32_e32 v1, v2
	;; [unrolled: 1-line block ×3, first 2 shown]
; %bb.211:
	s_or_b64 exec, exec, s[2:3]
                                        ; implicit-def: $vgpr2
                                        ; implicit-def: $vgpr3
.LBB14_212:
	s_andn2_saveexec_b64 s[0:1], s[0:1]
; %bb.213:
	v_cmp_lt_f32_e32 vcc, v2, v1
	v_cndmask_b32_e32 v1, v1, v2, vcc
	v_cmp_gt_f32_e32 vcc, v3, v4
	v_cndmask_b32_e32 v4, v4, v3, vcc
	v_mov_b32_e32 v5, 1
; %bb.214:
	s_or_b64 exec, exec, s[0:1]
	s_nop 0
	v_mov_b32_dpp v6, v5 row_bcast:15 row_mask:0xf bank_mask:0xf bound_ctrl:1
	v_and_b32_e32 v7, 1, v6
	v_and_b32_e32 v6, v6, v5
	v_and_b32_e32 v6, 1, v6
	v_mov_b32_dpp v2, v1 row_bcast:15 row_mask:0xf bank_mask:0xf bound_ctrl:1
	v_mov_b32_dpp v3, v4 row_bcast:15 row_mask:0xf bank_mask:0xf bound_ctrl:1
	v_cmp_ne_u32_e32 vcc, 1, v7
	v_cmp_ne_u32_e64 s[0:1], 1, v6
                                        ; implicit-def: $vgpr6
	s_and_saveexec_b64 s[2:3], s[0:1]
	s_xor_b64 s[0:1], exec, s[2:3]
	s_cbranch_execz .LBB14_218
; %bb.215:
	v_mov_b32_e32 v6, 1
	s_and_saveexec_b64 s[2:3], vcc
; %bb.216:
	v_mov_b32_e32 v3, v4
	v_mov_b32_e32 v2, v1
	;; [unrolled: 1-line block ×3, first 2 shown]
; %bb.217:
	s_or_b64 exec, exec, s[2:3]
                                        ; implicit-def: $vgpr1
                                        ; implicit-def: $vgpr4
.LBB14_218:
	s_andn2_saveexec_b64 s[0:1], s[0:1]
; %bb.219:
	v_cmp_lt_f32_e32 vcc, v1, v2
	v_cndmask_b32_e32 v2, v2, v1, vcc
	v_cmp_gt_f32_e32 vcc, v4, v3
	v_cndmask_b32_e32 v3, v3, v4, vcc
	v_mov_b32_e32 v6, 1
; %bb.220:
	s_or_b64 exec, exec, s[0:1]
	s_nop 0
	v_mov_b32_dpp v5, v6 row_bcast:31 row_mask:0xf bank_mask:0xf bound_ctrl:1
	v_and_b32_e32 v7, 1, v5
	v_and_b32_e32 v5, v5, v6
	;; [unrolled: 1-line block ×3, first 2 shown]
	v_mov_b32_dpp v1, v2 row_bcast:31 row_mask:0xf bank_mask:0xf bound_ctrl:1
	v_mov_b32_dpp v4, v3 row_bcast:31 row_mask:0xf bank_mask:0xf bound_ctrl:1
	v_cmp_ne_u32_e32 vcc, 1, v7
	v_cmp_ne_u32_e64 s[0:1], 1, v5
                                        ; implicit-def: $vgpr5
	s_and_saveexec_b64 s[2:3], s[0:1]
	s_xor_b64 s[0:1], exec, s[2:3]
	s_cbranch_execz .LBB14_224
; %bb.221:
	v_mov_b32_e32 v5, 1
	s_and_saveexec_b64 s[2:3], vcc
; %bb.222:
	v_mov_b32_e32 v4, v3
	v_mov_b32_e32 v1, v2
	;; [unrolled: 1-line block ×3, first 2 shown]
; %bb.223:
	s_or_b64 exec, exec, s[2:3]
                                        ; implicit-def: $vgpr2
                                        ; implicit-def: $vgpr3
.LBB14_224:
	s_andn2_saveexec_b64 s[0:1], s[0:1]
; %bb.225:
	v_cmp_lt_f32_e32 vcc, v2, v1
	v_cndmask_b32_e32 v1, v1, v2, vcc
	v_cmp_gt_f32_e32 vcc, v3, v4
	v_cndmask_b32_e32 v4, v4, v3, vcc
	v_mov_b32_e32 v5, 1
; %bb.226:
	s_or_b64 exec, exec, s[0:1]
	v_mbcnt_lo_u32_b32 v2, -1, 0
	v_mbcnt_hi_u32_b32 v3, -1, v2
	v_lshlrev_b32_e32 v7, 2, v3
	v_or_b32_e32 v2, 0xfc, v7
	ds_bpermute_b32 v17, v2, v5
	ds_bpermute_b32 v1, v2, v1
	;; [unrolled: 1-line block ×3, first 2 shown]
	v_cmp_eq_u32_e32 vcc, 0, v3
	s_and_saveexec_b64 s[0:1], vcc
	s_cbranch_execz .LBB14_228
; %bb.227:
	v_lshrrev_b32_e32 v4, 6, v0
	v_mul_u32_u24_e32 v4, 12, v4
	s_waitcnt lgkmcnt(2)
	ds_write_b8 v4, v17 offset:160
	s_waitcnt lgkmcnt(1)
	ds_write2_b32 v4, v1, v2 offset0:41 offset1:42
.LBB14_228:
	s_or_b64 exec, exec, s[0:1]
	v_cmp_gt_u32_e32 vcc, 64, v0
	s_waitcnt lgkmcnt(0)
	s_barrier
	s_and_saveexec_b64 s[0:1], vcc
	s_cbranch_execz .LBB14_236
; %bb.229:
	v_and_b32_e32 v1, 1, v3
	v_mul_u32_u24_e32 v1, 12, v1
	ds_read_u8 v6, v1 offset:160
	ds_read2_b32 v[3:4], v1 offset0:41 offset1:42
	v_or_b32_e32 v2, 4, v7
	s_waitcnt lgkmcnt(1)
	v_and_b32_e32 v1, 0xff, v6
	ds_bpermute_b32 v5, v2, v1
	s_waitcnt lgkmcnt(1)
	ds_bpermute_b32 v1, v2, v3
	ds_bpermute_b32 v2, v2, v4
	s_waitcnt lgkmcnt(2)
	v_and_b32_e32 v7, v6, v5
	v_and_b32_e32 v7, 1, v7
	v_cmp_eq_u32_e32 vcc, 1, v7
	s_and_saveexec_b64 s[2:3], vcc
	s_xor_b64 s[2:3], exec, s[2:3]
	s_cbranch_execz .LBB14_231
; %bb.230:
	s_waitcnt lgkmcnt(1)
	v_cmp_gt_f32_e32 vcc, v3, v1
	v_cndmask_b32_e32 v1, v3, v1, vcc
	s_waitcnt lgkmcnt(0)
	v_cmp_lt_f32_e32 vcc, v4, v2
	v_cndmask_b32_e32 v2, v4, v2, vcc
                                        ; implicit-def: $vgpr4
                                        ; implicit-def: $vgpr5
                                        ; implicit-def: $vgpr6
.LBB14_231:
	s_or_saveexec_b64 s[2:3], s[2:3]
	v_mov_b32_e32 v17, 1
	s_xor_b64 exec, exec, s[2:3]
	s_cbranch_execz .LBB14_235
; %bb.232:
	v_and_b32_e32 v6, 1, v6
	v_cmp_eq_u32_e32 vcc, 1, v6
	s_and_saveexec_b64 s[8:9], vcc
	s_cbranch_execz .LBB14_234
; %bb.233:
	v_mov_b32_e32 v5, 1
	s_waitcnt lgkmcnt(0)
	v_mov_b32_e32 v2, v4
	v_mov_b32_e32 v1, v3
.LBB14_234:
	s_or_b64 exec, exec, s[8:9]
	v_mov_b32_e32 v17, v5
.LBB14_235:
	s_or_b64 exec, exec, s[2:3]
.LBB14_236:
	s_or_b64 exec, exec, s[0:1]
	s_mov_b64 s[0:1], 0
	s_branch .LBB14_287
.LBB14_237:
                                        ; implicit-def: $vgpr4
                                        ; implicit-def: $vgpr5
	s_branch .LBB14_675
.LBB14_238:
	s_mov_b64 s[0:1], -1
                                        ; implicit-def: $vgpr2
                                        ; implicit-def: $vgpr33
.LBB14_239:
	s_and_b64 vcc, exec, s[0:1]
	s_cbranch_vccz .LBB14_477
; %bb.240:
	s_sub_i32 s47, s38, s10
	v_cmp_gt_u32_e32 vcc, s47, v0
	v_mov_b32_e32 v33, 0
	v_mov_b32_e32 v32, 0
	s_waitcnt lgkmcnt(0)
	v_mov_b32_e32 v2, 0
	v_mov_b32_e32 v1, 0
	s_and_saveexec_b64 s[0:1], vcc
	s_cbranch_execz .LBB14_242
; %bb.241:
	v_mad_u64_u32 v[3:4], s[2:3], v0, 12, s[34:35]
	global_load_ubyte v33, v[3:4], off
	global_load_dwordx2 v[1:2], v[3:4], off offset:4
.LBB14_242:
	s_or_b64 exec, exec, s[0:1]
	v_or_b32_e32 v3, 0x80, v0
	v_cmp_gt_u32_e64 s[30:31], s47, v3
	v_mov_b32_e32 v31, 0
	v_mov_b32_e32 v48, 0
	s_and_saveexec_b64 s[0:1], s[30:31]
	s_cbranch_execz .LBB14_244
; %bb.243:
	v_mad_u64_u32 v[3:4], s[2:3], v0, 12, s[34:35]
	global_load_ubyte v48, v[3:4], off offset:1536
	global_load_dwordx2 v[31:32], v[3:4], off offset:1540
.LBB14_244:
	s_or_b64 exec, exec, s[0:1]
	v_or_b32_e32 v3, 0x100, v0
	v_cmp_gt_u32_e64 s[28:29], s47, v3
	v_mov_b32_e32 v47, 0
	v_mov_b32_e32 v28, 0
	;; [unrolled: 1-line block ×4, first 2 shown]
	s_and_saveexec_b64 s[0:1], s[28:29]
	s_cbranch_execz .LBB14_246
; %bb.245:
	v_mad_u64_u32 v[3:4], s[2:3], v0, 12, s[34:35]
	global_load_ubyte v47, v[3:4], off offset:3072
	global_load_dwordx2 v[29:30], v[3:4], off offset:3076
.LBB14_246:
	s_or_b64 exec, exec, s[0:1]
	v_or_b32_e32 v3, 0x180, v0
	v_cmp_gt_u32_e64 s[26:27], s47, v3
	v_mov_b32_e32 v27, 0
	v_mov_b32_e32 v46, 0
	s_and_saveexec_b64 s[0:1], s[26:27]
	s_cbranch_execz .LBB14_248
; %bb.247:
	v_mad_u64_u32 v[3:4], s[2:3], v3, 12, s[34:35]
	global_load_ubyte v46, v[3:4], off
	global_load_dwordx2 v[27:28], v[3:4], off offset:4
.LBB14_248:
	s_or_b64 exec, exec, s[0:1]
	v_or_b32_e32 v3, 0x200, v0
	v_cmp_gt_u32_e64 s[24:25], s47, v3
	v_mov_b32_e32 v45, 0
	v_mov_b32_e32 v24, 0
	v_mov_b32_e32 v26, 0
	v_mov_b32_e32 v25, 0
	s_and_saveexec_b64 s[0:1], s[24:25]
	s_cbranch_execz .LBB14_250
; %bb.249:
	v_mad_u64_u32 v[3:4], s[2:3], v3, 12, s[34:35]
	global_load_ubyte v45, v[3:4], off
	global_load_dwordx2 v[25:26], v[3:4], off offset:4
.LBB14_250:
	s_or_b64 exec, exec, s[0:1]
	v_or_b32_e32 v3, 0x280, v0
	v_cmp_gt_u32_e64 s[22:23], s47, v3
	v_mov_b32_e32 v23, 0
	v_mov_b32_e32 v44, 0
	s_and_saveexec_b64 s[0:1], s[22:23]
	s_cbranch_execz .LBB14_252
; %bb.251:
	v_mad_u64_u32 v[3:4], s[2:3], v3, 12, s[34:35]
	global_load_ubyte v44, v[3:4], off
	global_load_dwordx2 v[23:24], v[3:4], off offset:4
.LBB14_252:
	s_or_b64 exec, exec, s[0:1]
	v_or_b32_e32 v3, 0x300, v0
	v_cmp_gt_u32_e64 s[20:21], s47, v3
	v_mov_b32_e32 v43, 0
	v_mov_b32_e32 v20, 0
	v_mov_b32_e32 v22, 0
	v_mov_b32_e32 v21, 0
	s_and_saveexec_b64 s[0:1], s[20:21]
	s_cbranch_execz .LBB14_254
; %bb.253:
	v_mad_u64_u32 v[3:4], s[2:3], v3, 12, s[34:35]
	global_load_ubyte v43, v[3:4], off
	global_load_dwordx2 v[21:22], v[3:4], off offset:4
.LBB14_254:
	s_or_b64 exec, exec, s[0:1]
	v_or_b32_e32 v3, 0x380, v0
	v_cmp_gt_u32_e64 s[18:19], s47, v3
	v_mov_b32_e32 v19, 0
	v_mov_b32_e32 v42, 0
	s_and_saveexec_b64 s[0:1], s[18:19]
	s_cbranch_execz .LBB14_256
; %bb.255:
	v_mad_u64_u32 v[3:4], s[2:3], v3, 12, s[34:35]
	global_load_ubyte v42, v[3:4], off
	global_load_dwordx2 v[19:20], v[3:4], off offset:4
.LBB14_256:
	s_or_b64 exec, exec, s[0:1]
	v_or_b32_e32 v3, 0x400, v0
	v_cmp_gt_u32_e64 s[16:17], s47, v3
	v_mov_b32_e32 v41, 0
	v_mov_b32_e32 v16, 0
	v_mov_b32_e32 v18, 0
	v_mov_b32_e32 v17, 0
	s_and_saveexec_b64 s[0:1], s[16:17]
	s_cbranch_execz .LBB14_258
; %bb.257:
	v_mad_u64_u32 v[3:4], s[2:3], v3, 12, s[34:35]
	global_load_ubyte v41, v[3:4], off
	global_load_dwordx2 v[17:18], v[3:4], off offset:4
.LBB14_258:
	s_or_b64 exec, exec, s[0:1]
	v_or_b32_e32 v3, 0x480, v0
	v_cmp_gt_u32_e64 s[14:15], s47, v3
	v_mov_b32_e32 v15, 0
	v_mov_b32_e32 v40, 0
	s_and_saveexec_b64 s[0:1], s[14:15]
	s_cbranch_execz .LBB14_260
; %bb.259:
	v_mad_u64_u32 v[3:4], s[2:3], v3, 12, s[34:35]
	global_load_ubyte v40, v[3:4], off
	global_load_dwordx2 v[15:16], v[3:4], off offset:4
.LBB14_260:
	s_or_b64 exec, exec, s[0:1]
	v_or_b32_e32 v3, 0x500, v0
	v_cmp_gt_u32_e64 s[12:13], s47, v3
	v_mov_b32_e32 v39, 0
	v_mov_b32_e32 v12, 0
	v_mov_b32_e32 v14, 0
	v_mov_b32_e32 v13, 0
	s_and_saveexec_b64 s[0:1], s[12:13]
	s_cbranch_execz .LBB14_262
; %bb.261:
	v_mad_u64_u32 v[3:4], s[2:3], v3, 12, s[34:35]
	global_load_ubyte v39, v[3:4], off
	global_load_dwordx2 v[13:14], v[3:4], off offset:4
.LBB14_262:
	s_or_b64 exec, exec, s[0:1]
	v_or_b32_e32 v3, 0x580, v0
	v_cmp_gt_u32_e64 s[10:11], s47, v3
	v_mov_b32_e32 v11, 0
	v_mov_b32_e32 v38, 0
	s_and_saveexec_b64 s[0:1], s[10:11]
	s_cbranch_execz .LBB14_264
; %bb.263:
	v_mad_u64_u32 v[3:4], s[2:3], v3, 12, s[34:35]
	global_load_ubyte v38, v[3:4], off
	global_load_dwordx2 v[11:12], v[3:4], off offset:4
.LBB14_264:
	s_or_b64 exec, exec, s[0:1]
	v_or_b32_e32 v3, 0x600, v0
	v_cmp_gt_u32_e64 s[8:9], s47, v3
	v_mov_b32_e32 v9, 0
	v_mov_b32_e32 v36, 0
	v_mov_b32_e32 v37, 0
	v_mov_b32_e32 v10, 0
	s_and_saveexec_b64 s[0:1], s[8:9]
	s_cbranch_execz .LBB14_266
; %bb.265:
	v_mad_u64_u32 v[3:4], s[2:3], v3, 12, s[34:35]
	global_load_ubyte v37, v[3:4], off
	global_load_dwordx2 v[9:10], v[3:4], off offset:4
.LBB14_266:
	s_or_b64 exec, exec, s[0:1]
	v_or_b32_e32 v3, 0x680, v0
	v_cmp_gt_u32_e64 s[2:3], s47, v3
	v_mov_b32_e32 v7, 0
	v_mov_b32_e32 v8, 0
	s_and_saveexec_b64 s[0:1], s[2:3]
	s_cbranch_execz .LBB14_268
; %bb.267:
	v_mad_u64_u32 v[3:4], s[44:45], v3, 12, s[34:35]
	global_load_ubyte v36, v[3:4], off
	global_load_dwordx2 v[7:8], v[3:4], off offset:4
.LBB14_268:
	s_or_b64 exec, exec, s[0:1]
	v_or_b32_e32 v3, 0x700, v0
	v_cmp_gt_u32_e64 s[0:1], s47, v3
	v_mov_b32_e32 v5, 0
	v_mov_b32_e32 v34, 0
	v_mov_b32_e32 v35, 0
	v_mov_b32_e32 v6, 0
	s_and_saveexec_b64 s[44:45], s[0:1]
	s_cbranch_execz .LBB14_270
; %bb.269:
	v_mad_u64_u32 v[3:4], s[48:49], v3, 12, s[34:35]
	global_load_ubyte v35, v[3:4], off
	global_load_dwordx2 v[5:6], v[3:4], off offset:4
.LBB14_270:
	s_or_b64 exec, exec, s[44:45]
	v_or_b32_e32 v49, 0x780, v0
	v_cmp_gt_u32_e32 vcc, s47, v49
	v_mov_b32_e32 v3, 0
	v_mov_b32_e32 v4, 0
	s_and_saveexec_b64 s[44:45], vcc
	s_cbranch_execnz .LBB14_310
; %bb.271:
	s_or_b64 exec, exec, s[44:45]
	s_and_saveexec_b64 s[44:45], s[30:31]
	s_cbranch_execnz .LBB14_311
.LBB14_272:
	s_or_b64 exec, exec, s[44:45]
	s_and_saveexec_b64 s[34:35], s[28:29]
	s_cbranch_execnz .LBB14_318
.LBB14_273:
	s_or_b64 exec, exec, s[34:35]
	s_and_saveexec_b64 s[30:31], s[26:27]
	s_cbranch_execnz .LBB14_325
.LBB14_274:
	s_or_b64 exec, exec, s[30:31]
	s_and_saveexec_b64 s[28:29], s[24:25]
	s_cbranch_execnz .LBB14_332
.LBB14_275:
	s_or_b64 exec, exec, s[28:29]
	s_and_saveexec_b64 s[26:27], s[22:23]
	s_cbranch_execnz .LBB14_339
.LBB14_276:
	s_or_b64 exec, exec, s[26:27]
	s_and_saveexec_b64 s[24:25], s[20:21]
	s_cbranch_execnz .LBB14_346
.LBB14_277:
	s_or_b64 exec, exec, s[24:25]
	s_and_saveexec_b64 s[22:23], s[18:19]
	s_cbranch_execnz .LBB14_353
.LBB14_278:
	s_or_b64 exec, exec, s[22:23]
	s_and_saveexec_b64 s[20:21], s[16:17]
	s_cbranch_execnz .LBB14_360
.LBB14_279:
	s_or_b64 exec, exec, s[20:21]
	s_and_saveexec_b64 s[18:19], s[14:15]
	s_cbranch_execnz .LBB14_367
.LBB14_280:
	s_or_b64 exec, exec, s[18:19]
	s_and_saveexec_b64 s[16:17], s[12:13]
	s_cbranch_execnz .LBB14_374
.LBB14_281:
	s_or_b64 exec, exec, s[16:17]
	s_and_saveexec_b64 s[14:15], s[10:11]
	s_cbranch_execnz .LBB14_381
.LBB14_282:
	s_or_b64 exec, exec, s[14:15]
	s_and_saveexec_b64 s[12:13], s[8:9]
	s_cbranch_execnz .LBB14_388
.LBB14_283:
	s_or_b64 exec, exec, s[12:13]
	s_and_saveexec_b64 s[10:11], s[2:3]
	s_cbranch_execnz .LBB14_395
.LBB14_284:
	s_or_b64 exec, exec, s[10:11]
	s_and_saveexec_b64 s[8:9], s[0:1]
	s_cbranch_execnz .LBB14_402
.LBB14_285:
	s_or_b64 exec, exec, s[8:9]
	s_and_saveexec_b64 s[2:3], vcc
	s_cbranch_execnz .LBB14_409
	s_branch .LBB14_416
.LBB14_286:
	s_mov_b64 s[0:1], -1
                                        ; implicit-def: $vgpr2
                                        ; implicit-def: $vgpr17
.LBB14_287:
	s_and_b64 vcc, exec, s[0:1]
	s_cbranch_vccz .LBB14_598
; %bb.288:
	s_sub_i32 s22, s38, s10
	v_cmp_gt_u32_e32 vcc, s22, v0
	v_mov_b32_e32 v17, 0
	v_mov_b32_e32 v16, 0
	s_waitcnt lgkmcnt(0)
	v_mov_b32_e32 v2, 0
	v_mov_b32_e32 v1, 0
	s_and_saveexec_b64 s[0:1], vcc
	s_cbranch_execz .LBB14_290
; %bb.289:
	v_mad_u64_u32 v[3:4], s[2:3], v0, 12, s[16:17]
	global_load_ubyte v17, v[3:4], off
	global_load_dwordx2 v[1:2], v[3:4], off offset:4
.LBB14_290:
	s_or_b64 exec, exec, s[0:1]
	v_or_b32_e32 v3, 0x80, v0
	v_cmp_gt_u32_e64 s[14:15], s22, v3
	v_mov_b32_e32 v15, 0
	v_mov_b32_e32 v24, 0
	s_and_saveexec_b64 s[0:1], s[14:15]
	s_cbranch_execz .LBB14_292
; %bb.291:
	v_mad_u64_u32 v[3:4], s[2:3], v0, 12, s[16:17]
	global_load_ubyte v24, v[3:4], off offset:1536
	global_load_dwordx2 v[15:16], v[3:4], off offset:1540
.LBB14_292:
	s_or_b64 exec, exec, s[0:1]
	v_or_b32_e32 v3, 0x100, v0
	v_cmp_gt_u32_e64 s[12:13], s22, v3
	v_mov_b32_e32 v23, 0
	v_mov_b32_e32 v12, 0
	;; [unrolled: 1-line block ×4, first 2 shown]
	s_and_saveexec_b64 s[0:1], s[12:13]
	s_cbranch_execz .LBB14_294
; %bb.293:
	v_mad_u64_u32 v[3:4], s[2:3], v0, 12, s[16:17]
	global_load_ubyte v23, v[3:4], off offset:3072
	global_load_dwordx2 v[13:14], v[3:4], off offset:3076
.LBB14_294:
	s_or_b64 exec, exec, s[0:1]
	v_or_b32_e32 v3, 0x180, v0
	v_cmp_gt_u32_e64 s[10:11], s22, v3
	v_mov_b32_e32 v11, 0
	v_mov_b32_e32 v22, 0
	s_and_saveexec_b64 s[0:1], s[10:11]
	s_cbranch_execz .LBB14_296
; %bb.295:
	v_mad_u64_u32 v[3:4], s[2:3], v3, 12, s[16:17]
	global_load_ubyte v22, v[3:4], off
	global_load_dwordx2 v[11:12], v[3:4], off offset:4
.LBB14_296:
	s_or_b64 exec, exec, s[0:1]
	v_or_b32_e32 v3, 0x200, v0
	v_cmp_gt_u32_e64 s[8:9], s22, v3
	v_mov_b32_e32 v21, 0
	v_mov_b32_e32 v8, 0
	;; [unrolled: 1-line block ×4, first 2 shown]
	s_and_saveexec_b64 s[0:1], s[8:9]
	s_cbranch_execz .LBB14_298
; %bb.297:
	v_mad_u64_u32 v[3:4], s[2:3], v3, 12, s[16:17]
	global_load_ubyte v21, v[3:4], off
	global_load_dwordx2 v[9:10], v[3:4], off offset:4
.LBB14_298:
	s_or_b64 exec, exec, s[0:1]
	v_or_b32_e32 v3, 0x280, v0
	v_cmp_gt_u32_e64 s[2:3], s22, v3
	v_mov_b32_e32 v7, 0
	v_mov_b32_e32 v20, 0
	s_and_saveexec_b64 s[0:1], s[2:3]
	s_cbranch_execz .LBB14_300
; %bb.299:
	v_mad_u64_u32 v[3:4], s[20:21], v3, 12, s[16:17]
	global_load_ubyte v20, v[3:4], off
	global_load_dwordx2 v[7:8], v[3:4], off offset:4
.LBB14_300:
	s_or_b64 exec, exec, s[0:1]
	v_or_b32_e32 v3, 0x300, v0
	v_cmp_gt_u32_e64 s[0:1], s22, v3
	v_mov_b32_e32 v5, 0
	v_mov_b32_e32 v18, 0
	v_mov_b32_e32 v19, 0
	v_mov_b32_e32 v6, 0
	s_and_saveexec_b64 s[20:21], s[0:1]
	s_cbranch_execz .LBB14_302
; %bb.301:
	v_mad_u64_u32 v[3:4], s[24:25], v3, 12, s[16:17]
	global_load_ubyte v19, v[3:4], off
	global_load_dwordx2 v[5:6], v[3:4], off offset:4
.LBB14_302:
	s_or_b64 exec, exec, s[20:21]
	v_or_b32_e32 v25, 0x380, v0
	v_cmp_gt_u32_e32 vcc, s22, v25
	v_mov_b32_e32 v3, 0
	v_mov_b32_e32 v4, 0
	s_and_saveexec_b64 s[20:21], vcc
	s_cbranch_execnz .LBB14_487
; %bb.303:
	s_or_b64 exec, exec, s[20:21]
	s_and_saveexec_b64 s[20:21], s[14:15]
	s_cbranch_execnz .LBB14_488
.LBB14_304:
	s_or_b64 exec, exec, s[20:21]
	s_and_saveexec_b64 s[16:17], s[12:13]
	s_cbranch_execnz .LBB14_495
.LBB14_305:
	s_or_b64 exec, exec, s[16:17]
	s_and_saveexec_b64 s[14:15], s[10:11]
	s_cbranch_execnz .LBB14_502
.LBB14_306:
	s_or_b64 exec, exec, s[14:15]
	s_and_saveexec_b64 s[12:13], s[8:9]
	s_cbranch_execnz .LBB14_509
.LBB14_307:
	s_or_b64 exec, exec, s[12:13]
	s_and_saveexec_b64 s[10:11], s[2:3]
	s_cbranch_execnz .LBB14_516
.LBB14_308:
	s_or_b64 exec, exec, s[10:11]
	s_and_saveexec_b64 s[8:9], s[0:1]
	s_cbranch_execnz .LBB14_523
.LBB14_309:
	s_or_b64 exec, exec, s[8:9]
	s_and_saveexec_b64 s[2:3], vcc
	s_cbranch_execnz .LBB14_530
	s_branch .LBB14_537
.LBB14_310:
	v_mad_u64_u32 v[49:50], s[34:35], v49, 12, s[34:35]
	global_load_ubyte v34, v[49:50], off
	global_load_dwordx2 v[3:4], v[49:50], off offset:4
	s_or_b64 exec, exec, s[44:45]
	s_and_saveexec_b64 s[44:45], s[30:31]
	s_cbranch_execz .LBB14_272
.LBB14_311:
	s_waitcnt vmcnt(1)
	v_and_b32_e32 v33, 1, v33
	v_cmp_eq_u32_e64 s[30:31], 1, v33
	v_and_b32_e32 v33, 1, v48
	v_cmp_eq_u32_e64 s[34:35], 1, v33
	s_and_b64 s[34:35], s[30:31], s[34:35]
	s_xor_b64 s[34:35], s[34:35], -1
                                        ; implicit-def: $vgpr33
	s_and_saveexec_b64 s[48:49], s[34:35]
	s_xor_b64 s[34:35], exec, s[48:49]
	s_cbranch_execz .LBB14_315
; %bb.312:
	s_xor_b64 s[48:49], s[30:31], -1
	v_mov_b32_e32 v33, 1
	s_and_saveexec_b64 s[30:31], s[48:49]
	s_cbranch_execz .LBB14_314
; %bb.313:
	v_and_b32_e32 v33, 0xff, v48
	s_waitcnt vmcnt(0)
	v_mov_b32_e32 v2, v32
	v_mov_b32_e32 v1, v31
.LBB14_314:
	s_or_b64 exec, exec, s[30:31]
                                        ; implicit-def: $vgpr31
.LBB14_315:
	s_andn2_saveexec_b64 s[34:35], s[34:35]
	s_cbranch_execz .LBB14_317
; %bb.316:
	s_waitcnt vmcnt(0)
	v_cmp_lt_f32_e64 s[30:31], v31, v1
	v_cndmask_b32_e64 v1, v1, v31, s[30:31]
	v_cmp_lt_f32_e64 s[30:31], v2, v32
	v_cndmask_b32_e64 v2, v2, v32, s[30:31]
	v_mov_b32_e32 v33, 1
.LBB14_317:
	s_or_b64 exec, exec, s[34:35]
	s_or_b64 exec, exec, s[44:45]
	s_and_saveexec_b64 s[34:35], s[28:29]
	s_cbranch_execz .LBB14_273
.LBB14_318:
	s_waitcnt vmcnt(0)
	v_and_b32_e32 v31, 1, v33
	v_cmp_eq_u32_e64 s[28:29], 1, v31
	v_and_b32_e32 v31, 1, v47
	v_cmp_eq_u32_e64 s[30:31], 1, v31
	s_and_b64 s[30:31], s[28:29], s[30:31]
	s_xor_b64 s[30:31], s[30:31], -1
                                        ; implicit-def: $vgpr33
	s_and_saveexec_b64 s[44:45], s[30:31]
	s_xor_b64 s[30:31], exec, s[44:45]
	s_cbranch_execz .LBB14_322
; %bb.319:
	s_xor_b64 s[44:45], s[28:29], -1
	v_mov_b32_e32 v33, 1
	s_and_saveexec_b64 s[28:29], s[44:45]
; %bb.320:
	v_and_b32_e32 v33, 0xff, v47
	v_mov_b32_e32 v2, v30
	v_mov_b32_e32 v1, v29
; %bb.321:
	s_or_b64 exec, exec, s[28:29]
                                        ; implicit-def: $vgpr29
.LBB14_322:
	s_andn2_saveexec_b64 s[30:31], s[30:31]
; %bb.323:
	v_cmp_lt_f32_e64 s[28:29], v29, v1
	v_cndmask_b32_e64 v1, v1, v29, s[28:29]
	v_cmp_lt_f32_e64 s[28:29], v2, v30
	v_cndmask_b32_e64 v2, v2, v30, s[28:29]
	v_mov_b32_e32 v33, 1
; %bb.324:
	s_or_b64 exec, exec, s[30:31]
	s_or_b64 exec, exec, s[34:35]
	s_and_saveexec_b64 s[30:31], s[26:27]
	s_cbranch_execz .LBB14_274
.LBB14_325:
	s_waitcnt vmcnt(0)
	v_and_b32_e32 v29, 1, v33
	v_cmp_eq_u32_e64 s[26:27], 1, v29
	v_and_b32_e32 v29, 1, v46
	v_cmp_eq_u32_e64 s[28:29], 1, v29
	s_and_b64 s[28:29], s[26:27], s[28:29]
	s_xor_b64 s[28:29], s[28:29], -1
                                        ; implicit-def: $vgpr33
	s_and_saveexec_b64 s[34:35], s[28:29]
	s_xor_b64 s[28:29], exec, s[34:35]
	s_cbranch_execz .LBB14_329
; %bb.326:
	s_xor_b64 s[34:35], s[26:27], -1
	v_mov_b32_e32 v33, 1
	s_and_saveexec_b64 s[26:27], s[34:35]
; %bb.327:
	v_and_b32_e32 v33, 0xff, v46
	v_mov_b32_e32 v2, v28
	v_mov_b32_e32 v1, v27
; %bb.328:
	s_or_b64 exec, exec, s[26:27]
                                        ; implicit-def: $vgpr27
.LBB14_329:
	s_andn2_saveexec_b64 s[28:29], s[28:29]
; %bb.330:
	v_cmp_lt_f32_e64 s[26:27], v27, v1
	v_cndmask_b32_e64 v1, v1, v27, s[26:27]
	v_cmp_lt_f32_e64 s[26:27], v2, v28
	v_cndmask_b32_e64 v2, v2, v28, s[26:27]
	v_mov_b32_e32 v33, 1
; %bb.331:
	s_or_b64 exec, exec, s[28:29]
	s_or_b64 exec, exec, s[30:31]
	s_and_saveexec_b64 s[28:29], s[24:25]
	s_cbranch_execz .LBB14_275
.LBB14_332:
	s_waitcnt vmcnt(0)
	v_and_b32_e32 v27, 1, v33
	v_cmp_eq_u32_e64 s[24:25], 1, v27
	v_and_b32_e32 v27, 1, v45
	v_cmp_eq_u32_e64 s[26:27], 1, v27
	s_and_b64 s[26:27], s[24:25], s[26:27]
	s_xor_b64 s[26:27], s[26:27], -1
                                        ; implicit-def: $vgpr33
	s_and_saveexec_b64 s[30:31], s[26:27]
	s_xor_b64 s[26:27], exec, s[30:31]
	s_cbranch_execz .LBB14_336
; %bb.333:
	s_xor_b64 s[30:31], s[24:25], -1
	v_mov_b32_e32 v33, 1
	s_and_saveexec_b64 s[24:25], s[30:31]
; %bb.334:
	v_and_b32_e32 v33, 0xff, v45
	v_mov_b32_e32 v2, v26
	v_mov_b32_e32 v1, v25
; %bb.335:
	s_or_b64 exec, exec, s[24:25]
                                        ; implicit-def: $vgpr25
.LBB14_336:
	s_andn2_saveexec_b64 s[26:27], s[26:27]
; %bb.337:
	v_cmp_lt_f32_e64 s[24:25], v25, v1
	v_cndmask_b32_e64 v1, v1, v25, s[24:25]
	v_cmp_lt_f32_e64 s[24:25], v2, v26
	v_cndmask_b32_e64 v2, v2, v26, s[24:25]
	v_mov_b32_e32 v33, 1
; %bb.338:
	s_or_b64 exec, exec, s[26:27]
	s_or_b64 exec, exec, s[28:29]
	s_and_saveexec_b64 s[26:27], s[22:23]
	s_cbranch_execz .LBB14_276
.LBB14_339:
	s_waitcnt vmcnt(0)
	v_and_b32_e32 v25, 1, v33
	v_cmp_eq_u32_e64 s[22:23], 1, v25
	v_and_b32_e32 v25, 1, v44
	v_cmp_eq_u32_e64 s[24:25], 1, v25
	s_and_b64 s[24:25], s[22:23], s[24:25]
	s_xor_b64 s[24:25], s[24:25], -1
                                        ; implicit-def: $vgpr33
	s_and_saveexec_b64 s[28:29], s[24:25]
	s_xor_b64 s[24:25], exec, s[28:29]
	s_cbranch_execz .LBB14_343
; %bb.340:
	s_xor_b64 s[28:29], s[22:23], -1
	v_mov_b32_e32 v33, 1
	s_and_saveexec_b64 s[22:23], s[28:29]
; %bb.341:
	v_and_b32_e32 v33, 0xff, v44
	v_mov_b32_e32 v2, v24
	v_mov_b32_e32 v1, v23
; %bb.342:
	s_or_b64 exec, exec, s[22:23]
                                        ; implicit-def: $vgpr23
.LBB14_343:
	s_andn2_saveexec_b64 s[24:25], s[24:25]
; %bb.344:
	v_cmp_lt_f32_e64 s[22:23], v23, v1
	v_cndmask_b32_e64 v1, v1, v23, s[22:23]
	v_cmp_lt_f32_e64 s[22:23], v2, v24
	v_cndmask_b32_e64 v2, v2, v24, s[22:23]
	v_mov_b32_e32 v33, 1
; %bb.345:
	s_or_b64 exec, exec, s[24:25]
	s_or_b64 exec, exec, s[26:27]
	s_and_saveexec_b64 s[24:25], s[20:21]
	s_cbranch_execz .LBB14_277
.LBB14_346:
	s_waitcnt vmcnt(0)
	v_and_b32_e32 v23, 1, v33
	v_cmp_eq_u32_e64 s[20:21], 1, v23
	v_and_b32_e32 v23, 1, v43
	v_cmp_eq_u32_e64 s[22:23], 1, v23
	s_and_b64 s[22:23], s[20:21], s[22:23]
	s_xor_b64 s[22:23], s[22:23], -1
                                        ; implicit-def: $vgpr33
	s_and_saveexec_b64 s[26:27], s[22:23]
	s_xor_b64 s[22:23], exec, s[26:27]
	s_cbranch_execz .LBB14_350
; %bb.347:
	s_xor_b64 s[26:27], s[20:21], -1
	v_mov_b32_e32 v33, 1
	s_and_saveexec_b64 s[20:21], s[26:27]
; %bb.348:
	v_and_b32_e32 v33, 0xff, v43
	v_mov_b32_e32 v2, v22
	v_mov_b32_e32 v1, v21
; %bb.349:
	s_or_b64 exec, exec, s[20:21]
                                        ; implicit-def: $vgpr21
.LBB14_350:
	s_andn2_saveexec_b64 s[22:23], s[22:23]
; %bb.351:
	v_cmp_lt_f32_e64 s[20:21], v21, v1
	v_cndmask_b32_e64 v1, v1, v21, s[20:21]
	v_cmp_lt_f32_e64 s[20:21], v2, v22
	v_cndmask_b32_e64 v2, v2, v22, s[20:21]
	v_mov_b32_e32 v33, 1
; %bb.352:
	s_or_b64 exec, exec, s[22:23]
	s_or_b64 exec, exec, s[24:25]
	s_and_saveexec_b64 s[22:23], s[18:19]
	s_cbranch_execz .LBB14_278
.LBB14_353:
	s_waitcnt vmcnt(0)
	v_and_b32_e32 v21, 1, v33
	v_cmp_eq_u32_e64 s[18:19], 1, v21
	v_and_b32_e32 v21, 1, v42
	v_cmp_eq_u32_e64 s[20:21], 1, v21
	s_and_b64 s[20:21], s[18:19], s[20:21]
	s_xor_b64 s[20:21], s[20:21], -1
                                        ; implicit-def: $vgpr33
	s_and_saveexec_b64 s[24:25], s[20:21]
	s_xor_b64 s[20:21], exec, s[24:25]
	s_cbranch_execz .LBB14_357
; %bb.354:
	s_xor_b64 s[24:25], s[18:19], -1
	v_mov_b32_e32 v33, 1
	s_and_saveexec_b64 s[18:19], s[24:25]
; %bb.355:
	v_and_b32_e32 v33, 0xff, v42
	v_mov_b32_e32 v2, v20
	v_mov_b32_e32 v1, v19
; %bb.356:
	s_or_b64 exec, exec, s[18:19]
                                        ; implicit-def: $vgpr19
.LBB14_357:
	s_andn2_saveexec_b64 s[20:21], s[20:21]
; %bb.358:
	v_cmp_lt_f32_e64 s[18:19], v19, v1
	v_cndmask_b32_e64 v1, v1, v19, s[18:19]
	v_cmp_lt_f32_e64 s[18:19], v2, v20
	v_cndmask_b32_e64 v2, v2, v20, s[18:19]
	v_mov_b32_e32 v33, 1
; %bb.359:
	s_or_b64 exec, exec, s[20:21]
	s_or_b64 exec, exec, s[22:23]
	s_and_saveexec_b64 s[20:21], s[16:17]
	s_cbranch_execz .LBB14_279
.LBB14_360:
	s_waitcnt vmcnt(0)
	v_and_b32_e32 v19, 1, v33
	v_cmp_eq_u32_e64 s[16:17], 1, v19
	v_and_b32_e32 v19, 1, v41
	v_cmp_eq_u32_e64 s[18:19], 1, v19
	s_and_b64 s[18:19], s[16:17], s[18:19]
	s_xor_b64 s[18:19], s[18:19], -1
                                        ; implicit-def: $vgpr33
	s_and_saveexec_b64 s[22:23], s[18:19]
	s_xor_b64 s[18:19], exec, s[22:23]
	s_cbranch_execz .LBB14_364
; %bb.361:
	s_xor_b64 s[22:23], s[16:17], -1
	v_mov_b32_e32 v33, 1
	s_and_saveexec_b64 s[16:17], s[22:23]
; %bb.362:
	v_and_b32_e32 v33, 0xff, v41
	v_mov_b32_e32 v2, v18
	v_mov_b32_e32 v1, v17
; %bb.363:
	s_or_b64 exec, exec, s[16:17]
                                        ; implicit-def: $vgpr17
.LBB14_364:
	s_andn2_saveexec_b64 s[18:19], s[18:19]
; %bb.365:
	v_cmp_lt_f32_e64 s[16:17], v17, v1
	v_cndmask_b32_e64 v1, v1, v17, s[16:17]
	v_cmp_lt_f32_e64 s[16:17], v2, v18
	v_cndmask_b32_e64 v2, v2, v18, s[16:17]
	v_mov_b32_e32 v33, 1
; %bb.366:
	s_or_b64 exec, exec, s[18:19]
	s_or_b64 exec, exec, s[20:21]
	s_and_saveexec_b64 s[18:19], s[14:15]
	s_cbranch_execz .LBB14_280
.LBB14_367:
	s_waitcnt vmcnt(0)
	v_and_b32_e32 v17, 1, v33
	v_cmp_eq_u32_e64 s[14:15], 1, v17
	v_and_b32_e32 v17, 1, v40
	v_cmp_eq_u32_e64 s[16:17], 1, v17
	s_and_b64 s[16:17], s[14:15], s[16:17]
	s_xor_b64 s[16:17], s[16:17], -1
                                        ; implicit-def: $vgpr33
	s_and_saveexec_b64 s[20:21], s[16:17]
	s_xor_b64 s[16:17], exec, s[20:21]
	s_cbranch_execz .LBB14_371
; %bb.368:
	s_xor_b64 s[20:21], s[14:15], -1
	v_mov_b32_e32 v33, 1
	s_and_saveexec_b64 s[14:15], s[20:21]
; %bb.369:
	v_and_b32_e32 v33, 0xff, v40
	v_mov_b32_e32 v2, v16
	v_mov_b32_e32 v1, v15
; %bb.370:
	s_or_b64 exec, exec, s[14:15]
                                        ; implicit-def: $vgpr15
.LBB14_371:
	s_andn2_saveexec_b64 s[16:17], s[16:17]
; %bb.372:
	v_cmp_lt_f32_e64 s[14:15], v15, v1
	v_cndmask_b32_e64 v1, v1, v15, s[14:15]
	v_cmp_lt_f32_e64 s[14:15], v2, v16
	v_cndmask_b32_e64 v2, v2, v16, s[14:15]
	v_mov_b32_e32 v33, 1
; %bb.373:
	s_or_b64 exec, exec, s[16:17]
	s_or_b64 exec, exec, s[18:19]
	s_and_saveexec_b64 s[16:17], s[12:13]
	s_cbranch_execz .LBB14_281
.LBB14_374:
	s_waitcnt vmcnt(0)
	v_and_b32_e32 v15, 1, v33
	v_cmp_eq_u32_e64 s[12:13], 1, v15
	v_and_b32_e32 v15, 1, v39
	v_cmp_eq_u32_e64 s[14:15], 1, v15
	s_and_b64 s[14:15], s[12:13], s[14:15]
	s_xor_b64 s[14:15], s[14:15], -1
                                        ; implicit-def: $vgpr33
	s_and_saveexec_b64 s[18:19], s[14:15]
	s_xor_b64 s[14:15], exec, s[18:19]
	s_cbranch_execz .LBB14_378
; %bb.375:
	s_xor_b64 s[18:19], s[12:13], -1
	v_mov_b32_e32 v33, 1
	s_and_saveexec_b64 s[12:13], s[18:19]
; %bb.376:
	v_and_b32_e32 v33, 0xff, v39
	v_mov_b32_e32 v2, v14
	v_mov_b32_e32 v1, v13
; %bb.377:
	s_or_b64 exec, exec, s[12:13]
                                        ; implicit-def: $vgpr13
.LBB14_378:
	s_andn2_saveexec_b64 s[14:15], s[14:15]
; %bb.379:
	v_cmp_lt_f32_e64 s[12:13], v13, v1
	v_cndmask_b32_e64 v1, v1, v13, s[12:13]
	v_cmp_lt_f32_e64 s[12:13], v2, v14
	v_cndmask_b32_e64 v2, v2, v14, s[12:13]
	v_mov_b32_e32 v33, 1
; %bb.380:
	s_or_b64 exec, exec, s[14:15]
	s_or_b64 exec, exec, s[16:17]
	s_and_saveexec_b64 s[14:15], s[10:11]
	s_cbranch_execz .LBB14_282
.LBB14_381:
	s_waitcnt vmcnt(0)
	v_and_b32_e32 v13, 1, v33
	v_cmp_eq_u32_e64 s[10:11], 1, v13
	v_and_b32_e32 v13, 1, v38
	v_cmp_eq_u32_e64 s[12:13], 1, v13
	s_and_b64 s[12:13], s[10:11], s[12:13]
	s_xor_b64 s[12:13], s[12:13], -1
                                        ; implicit-def: $vgpr33
	s_and_saveexec_b64 s[16:17], s[12:13]
	s_xor_b64 s[12:13], exec, s[16:17]
	s_cbranch_execz .LBB14_385
; %bb.382:
	s_xor_b64 s[16:17], s[10:11], -1
	v_mov_b32_e32 v33, 1
	s_and_saveexec_b64 s[10:11], s[16:17]
; %bb.383:
	v_and_b32_e32 v33, 0xff, v38
	v_mov_b32_e32 v2, v12
	v_mov_b32_e32 v1, v11
; %bb.384:
	s_or_b64 exec, exec, s[10:11]
                                        ; implicit-def: $vgpr11
.LBB14_385:
	s_andn2_saveexec_b64 s[12:13], s[12:13]
; %bb.386:
	v_cmp_lt_f32_e64 s[10:11], v11, v1
	v_cndmask_b32_e64 v1, v1, v11, s[10:11]
	v_cmp_lt_f32_e64 s[10:11], v2, v12
	v_cndmask_b32_e64 v2, v2, v12, s[10:11]
	v_mov_b32_e32 v33, 1
; %bb.387:
	s_or_b64 exec, exec, s[12:13]
	s_or_b64 exec, exec, s[14:15]
	s_and_saveexec_b64 s[12:13], s[8:9]
	s_cbranch_execz .LBB14_283
.LBB14_388:
	s_waitcnt vmcnt(0)
	v_and_b32_e32 v11, 1, v33
	v_cmp_eq_u32_e64 s[8:9], 1, v11
	v_and_b32_e32 v11, 1, v37
	v_cmp_eq_u32_e64 s[10:11], 1, v11
	s_and_b64 s[10:11], s[8:9], s[10:11]
	s_xor_b64 s[10:11], s[10:11], -1
                                        ; implicit-def: $vgpr33
	s_and_saveexec_b64 s[14:15], s[10:11]
	s_xor_b64 s[10:11], exec, s[14:15]
	s_cbranch_execz .LBB14_392
; %bb.389:
	s_xor_b64 s[14:15], s[8:9], -1
	v_mov_b32_e32 v33, 1
	s_and_saveexec_b64 s[8:9], s[14:15]
; %bb.390:
	v_and_b32_e32 v33, 0xff, v37
	v_mov_b32_e32 v2, v10
	v_mov_b32_e32 v1, v9
; %bb.391:
	s_or_b64 exec, exec, s[8:9]
                                        ; implicit-def: $vgpr9
.LBB14_392:
	s_andn2_saveexec_b64 s[10:11], s[10:11]
; %bb.393:
	v_cmp_lt_f32_e64 s[8:9], v9, v1
	v_cndmask_b32_e64 v1, v1, v9, s[8:9]
	v_cmp_lt_f32_e64 s[8:9], v2, v10
	v_cndmask_b32_e64 v2, v2, v10, s[8:9]
	v_mov_b32_e32 v33, 1
; %bb.394:
	s_or_b64 exec, exec, s[10:11]
	s_or_b64 exec, exec, s[12:13]
	s_and_saveexec_b64 s[10:11], s[2:3]
	s_cbranch_execz .LBB14_284
.LBB14_395:
	s_waitcnt vmcnt(0)
	v_and_b32_e32 v9, 1, v33
	v_cmp_eq_u32_e64 s[2:3], 1, v9
	v_and_b32_e32 v9, 1, v36
	v_cmp_eq_u32_e64 s[8:9], 1, v9
	s_and_b64 s[8:9], s[2:3], s[8:9]
	s_xor_b64 s[8:9], s[8:9], -1
                                        ; implicit-def: $vgpr33
	s_and_saveexec_b64 s[12:13], s[8:9]
	s_xor_b64 s[8:9], exec, s[12:13]
	s_cbranch_execz .LBB14_399
; %bb.396:
	s_xor_b64 s[12:13], s[2:3], -1
	v_mov_b32_e32 v33, 1
	s_and_saveexec_b64 s[2:3], s[12:13]
; %bb.397:
	v_and_b32_e32 v33, 0xff, v36
	v_mov_b32_e32 v2, v8
	v_mov_b32_e32 v1, v7
; %bb.398:
	s_or_b64 exec, exec, s[2:3]
                                        ; implicit-def: $vgpr7
.LBB14_399:
	s_andn2_saveexec_b64 s[8:9], s[8:9]
; %bb.400:
	v_cmp_lt_f32_e64 s[2:3], v7, v1
	v_cndmask_b32_e64 v1, v1, v7, s[2:3]
	v_cmp_lt_f32_e64 s[2:3], v2, v8
	v_cndmask_b32_e64 v2, v2, v8, s[2:3]
	v_mov_b32_e32 v33, 1
; %bb.401:
	s_or_b64 exec, exec, s[8:9]
	s_or_b64 exec, exec, s[10:11]
	s_and_saveexec_b64 s[8:9], s[0:1]
	s_cbranch_execz .LBB14_285
.LBB14_402:
	s_waitcnt vmcnt(0)
	v_and_b32_e32 v7, 1, v33
	v_cmp_eq_u32_e64 s[0:1], 1, v7
	v_and_b32_e32 v7, 1, v35
	v_cmp_eq_u32_e64 s[2:3], 1, v7
	s_and_b64 s[2:3], s[0:1], s[2:3]
	s_xor_b64 s[2:3], s[2:3], -1
                                        ; implicit-def: $vgpr33
	s_and_saveexec_b64 s[10:11], s[2:3]
	s_xor_b64 s[2:3], exec, s[10:11]
	s_cbranch_execz .LBB14_406
; %bb.403:
	s_xor_b64 s[10:11], s[0:1], -1
	v_mov_b32_e32 v33, 1
	s_and_saveexec_b64 s[0:1], s[10:11]
; %bb.404:
	v_and_b32_e32 v33, 0xff, v35
	v_mov_b32_e32 v2, v6
	v_mov_b32_e32 v1, v5
; %bb.405:
	s_or_b64 exec, exec, s[0:1]
                                        ; implicit-def: $vgpr5
.LBB14_406:
	s_andn2_saveexec_b64 s[2:3], s[2:3]
; %bb.407:
	v_cmp_lt_f32_e64 s[0:1], v5, v1
	v_cndmask_b32_e64 v1, v1, v5, s[0:1]
	v_cmp_lt_f32_e64 s[0:1], v2, v6
	v_cndmask_b32_e64 v2, v2, v6, s[0:1]
	v_mov_b32_e32 v33, 1
; %bb.408:
	s_or_b64 exec, exec, s[2:3]
	s_or_b64 exec, exec, s[8:9]
	s_and_saveexec_b64 s[2:3], vcc
	s_cbranch_execz .LBB14_416
.LBB14_409:
	s_waitcnt vmcnt(0)
	v_and_b32_e32 v5, 1, v33
	v_cmp_eq_u32_e32 vcc, 1, v5
	v_and_b32_e32 v5, 1, v34
	v_cmp_eq_u32_e64 s[0:1], 1, v5
	s_and_b64 s[0:1], vcc, s[0:1]
	s_xor_b64 s[0:1], s[0:1], -1
                                        ; implicit-def: $vgpr33
	s_and_saveexec_b64 s[8:9], s[0:1]
	s_xor_b64 s[0:1], exec, s[8:9]
	s_cbranch_execz .LBB14_413
; %bb.410:
	s_xor_b64 s[10:11], vcc, -1
	v_mov_b32_e32 v33, 1
	s_and_saveexec_b64 s[8:9], s[10:11]
; %bb.411:
	v_and_b32_e32 v33, 0xff, v34
	v_mov_b32_e32 v2, v4
	v_mov_b32_e32 v1, v3
; %bb.412:
	s_or_b64 exec, exec, s[8:9]
                                        ; implicit-def: $vgpr3
.LBB14_413:
	s_andn2_saveexec_b64 s[0:1], s[0:1]
; %bb.414:
	v_cmp_lt_f32_e32 vcc, v3, v1
	v_cndmask_b32_e32 v1, v1, v3, vcc
	v_cmp_lt_f32_e32 vcc, v2, v4
	v_cndmask_b32_e32 v2, v2, v4, vcc
	v_mov_b32_e32 v33, 1
; %bb.415:
	s_or_b64 exec, exec, s[0:1]
.LBB14_416:
	s_or_b64 exec, exec, s[2:3]
	s_waitcnt vmcnt(0)
	v_mbcnt_lo_u32_b32 v3, -1, 0
	v_mbcnt_hi_u32_b32 v3, -1, v3
	v_and_b32_e32 v4, 63, v3
	v_cmp_ne_u32_e32 vcc, 63, v4
	v_addc_co_u32_e32 v5, vcc, 0, v3, vcc
	v_lshlrev_b32_e32 v5, 2, v5
	ds_bpermute_b32 v8, v5, v33
	ds_bpermute_b32 v6, v5, v1
	;; [unrolled: 1-line block ×3, first 2 shown]
	s_min_u32 s10, s47, 0x80
	v_and_b32_e32 v5, 64, v0
	v_sub_u32_e64 v5, s10, v5 clamp
	v_add_u32_e32 v9, 1, v4
	v_cmp_lt_u32_e32 vcc, v9, v5
	s_and_saveexec_b64 s[0:1], vcc
	s_xor_b64 s[0:1], exec, s[0:1]
	s_cbranch_execz .LBB14_424
; %bb.417:
	s_waitcnt lgkmcnt(2)
	v_and_b32_e32 v9, v8, v33
	v_cmp_ne_u32_e32 vcc, 0, v9
	s_and_saveexec_b64 s[2:3], vcc
	s_xor_b64 s[2:3], exec, s[2:3]
	s_cbranch_execz .LBB14_419
; %bb.418:
	s_waitcnt lgkmcnt(1)
	v_cmp_gt_f32_e32 vcc, v1, v6
	v_cndmask_b32_e32 v6, v1, v6, vcc
	s_waitcnt lgkmcnt(0)
	v_cmp_lt_f32_e32 vcc, v2, v7
	v_cndmask_b32_e32 v7, v2, v7, vcc
                                        ; implicit-def: $vgpr2
                                        ; implicit-def: $vgpr8
                                        ; implicit-def: $vgpr33
.LBB14_419:
	s_or_saveexec_b64 s[2:3], s[2:3]
	v_mov_b32_e32 v9, 1
	s_xor_b64 exec, exec, s[2:3]
	s_cbranch_execz .LBB14_423
; %bb.420:
	v_and_b32_e32 v9, 1, v33
	v_cmp_eq_u32_e32 vcc, 1, v9
	s_and_saveexec_b64 s[8:9], vcc
	s_cbranch_execz .LBB14_422
; %bb.421:
	v_mov_b32_e32 v8, 1
	s_waitcnt lgkmcnt(0)
	v_mov_b32_e32 v7, v2
	v_mov_b32_e32 v6, v1
.LBB14_422:
	s_or_b64 exec, exec, s[8:9]
	v_mov_b32_e32 v9, v8
.LBB14_423:
	s_or_b64 exec, exec, s[2:3]
	v_and_b32_e32 v33, 0xff, v9
	s_waitcnt lgkmcnt(1)
	v_mov_b32_e32 v1, v6
	s_waitcnt lgkmcnt(0)
	v_mov_b32_e32 v2, v7
.LBB14_424:
	s_or_b64 exec, exec, s[0:1]
	v_cmp_gt_u32_e32 vcc, 62, v4
	s_waitcnt lgkmcnt(1)
	v_cndmask_b32_e64 v6, 0, 2, vcc
	v_add_lshl_u32 v6, v6, v3, 2
	ds_bpermute_b32 v8, v6, v33
	s_waitcnt lgkmcnt(1)
	ds_bpermute_b32 v7, v6, v1
	ds_bpermute_b32 v6, v6, v2
	v_add_u32_e32 v9, 2, v4
	v_cmp_lt_u32_e32 vcc, v9, v5
	s_and_saveexec_b64 s[0:1], vcc
	s_cbranch_execz .LBB14_432
; %bb.425:
	s_waitcnt lgkmcnt(2)
	v_and_b32_e32 v9, v33, v8
	v_and_b32_e32 v9, 1, v9
	v_cmp_eq_u32_e32 vcc, 1, v9
	s_and_saveexec_b64 s[2:3], vcc
	s_xor_b64 s[2:3], exec, s[2:3]
	s_cbranch_execz .LBB14_427
; %bb.426:
	s_waitcnt lgkmcnt(1)
	v_cmp_gt_f32_e32 vcc, v1, v7
	v_cndmask_b32_e32 v7, v1, v7, vcc
	s_waitcnt lgkmcnt(0)
	v_cmp_lt_f32_e32 vcc, v2, v6
	v_cndmask_b32_e32 v6, v2, v6, vcc
                                        ; implicit-def: $vgpr2
                                        ; implicit-def: $vgpr8
                                        ; implicit-def: $vgpr33
.LBB14_427:
	s_or_saveexec_b64 s[2:3], s[2:3]
	v_mov_b32_e32 v9, 1
	s_xor_b64 exec, exec, s[2:3]
	s_cbranch_execz .LBB14_431
; %bb.428:
	v_and_b32_e32 v9, 1, v33
	v_cmp_eq_u32_e32 vcc, 1, v9
	s_and_saveexec_b64 s[8:9], vcc
	s_cbranch_execz .LBB14_430
; %bb.429:
	v_mov_b32_e32 v8, 1
	s_waitcnt lgkmcnt(0)
	v_mov_b32_e32 v6, v2
	v_mov_b32_e32 v7, v1
.LBB14_430:
	s_or_b64 exec, exec, s[8:9]
	v_mov_b32_e32 v9, v8
.LBB14_431:
	s_or_b64 exec, exec, s[2:3]
	v_and_b32_e32 v33, 0xff, v9
	s_waitcnt lgkmcnt(1)
	v_mov_b32_e32 v1, v7
	s_waitcnt lgkmcnt(0)
	v_mov_b32_e32 v2, v6
.LBB14_432:
	s_or_b64 exec, exec, s[0:1]
	v_cmp_gt_u32_e32 vcc, 60, v4
	s_waitcnt lgkmcnt(0)
	v_cndmask_b32_e64 v6, 0, 4, vcc
	v_add_lshl_u32 v6, v6, v3, 2
	ds_bpermute_b32 v8, v6, v33
	ds_bpermute_b32 v7, v6, v1
	ds_bpermute_b32 v6, v6, v2
	v_add_u32_e32 v9, 4, v4
	v_cmp_lt_u32_e32 vcc, v9, v5
	s_and_saveexec_b64 s[0:1], vcc
	s_cbranch_execz .LBB14_440
; %bb.433:
	s_waitcnt lgkmcnt(2)
	v_and_b32_e32 v9, v33, v8
	v_and_b32_e32 v9, 1, v9
	v_cmp_eq_u32_e32 vcc, 1, v9
	s_and_saveexec_b64 s[2:3], vcc
	s_xor_b64 s[2:3], exec, s[2:3]
	s_cbranch_execz .LBB14_435
; %bb.434:
	s_waitcnt lgkmcnt(1)
	v_cmp_gt_f32_e32 vcc, v1, v7
	v_cndmask_b32_e32 v7, v1, v7, vcc
	s_waitcnt lgkmcnt(0)
	v_cmp_lt_f32_e32 vcc, v2, v6
	v_cndmask_b32_e32 v6, v2, v6, vcc
                                        ; implicit-def: $vgpr2
                                        ; implicit-def: $vgpr8
                                        ; implicit-def: $vgpr33
.LBB14_435:
	s_or_saveexec_b64 s[2:3], s[2:3]
	v_mov_b32_e32 v9, 1
	s_xor_b64 exec, exec, s[2:3]
	s_cbranch_execz .LBB14_439
; %bb.436:
	v_and_b32_e32 v9, 1, v33
	v_cmp_eq_u32_e32 vcc, 1, v9
	s_and_saveexec_b64 s[8:9], vcc
	s_cbranch_execz .LBB14_438
; %bb.437:
	v_mov_b32_e32 v8, 1
	s_waitcnt lgkmcnt(0)
	v_mov_b32_e32 v6, v2
	v_mov_b32_e32 v7, v1
.LBB14_438:
	s_or_b64 exec, exec, s[8:9]
	v_mov_b32_e32 v9, v8
.LBB14_439:
	s_or_b64 exec, exec, s[2:3]
	v_and_b32_e32 v33, 0xff, v9
	s_waitcnt lgkmcnt(1)
	v_mov_b32_e32 v1, v7
	s_waitcnt lgkmcnt(0)
	v_mov_b32_e32 v2, v6
.LBB14_440:
	s_or_b64 exec, exec, s[0:1]
	v_cmp_gt_u32_e32 vcc, 56, v4
	s_waitcnt lgkmcnt(0)
	v_cndmask_b32_e64 v6, 0, 8, vcc
	v_add_lshl_u32 v6, v6, v3, 2
	ds_bpermute_b32 v8, v6, v33
	;; [unrolled: 56-line block ×3, first 2 shown]
	ds_bpermute_b32 v7, v6, v1
	ds_bpermute_b32 v6, v6, v2
	v_add_u32_e32 v9, 16, v4
	v_cmp_lt_u32_e32 vcc, v9, v5
	s_and_saveexec_b64 s[0:1], vcc
	s_cbranch_execz .LBB14_456
; %bb.449:
	s_waitcnt lgkmcnt(2)
	v_and_b32_e32 v9, v33, v8
	v_and_b32_e32 v9, 1, v9
	v_cmp_eq_u32_e32 vcc, 1, v9
	s_and_saveexec_b64 s[2:3], vcc
	s_xor_b64 s[2:3], exec, s[2:3]
	s_cbranch_execz .LBB14_451
; %bb.450:
	s_waitcnt lgkmcnt(1)
	v_cmp_gt_f32_e32 vcc, v1, v7
	v_cndmask_b32_e32 v7, v1, v7, vcc
	s_waitcnt lgkmcnt(0)
	v_cmp_lt_f32_e32 vcc, v2, v6
	v_cndmask_b32_e32 v6, v2, v6, vcc
                                        ; implicit-def: $vgpr2
                                        ; implicit-def: $vgpr8
                                        ; implicit-def: $vgpr33
.LBB14_451:
	s_or_saveexec_b64 s[2:3], s[2:3]
	v_mov_b32_e32 v9, 1
	s_xor_b64 exec, exec, s[2:3]
	s_cbranch_execz .LBB14_455
; %bb.452:
	v_and_b32_e32 v9, 1, v33
	v_cmp_eq_u32_e32 vcc, 1, v9
	s_and_saveexec_b64 s[8:9], vcc
	s_cbranch_execz .LBB14_454
; %bb.453:
	v_mov_b32_e32 v8, 1
	s_waitcnt lgkmcnt(0)
	v_mov_b32_e32 v6, v2
	v_mov_b32_e32 v7, v1
.LBB14_454:
	s_or_b64 exec, exec, s[8:9]
	v_mov_b32_e32 v9, v8
.LBB14_455:
	s_or_b64 exec, exec, s[2:3]
	v_and_b32_e32 v33, 0xff, v9
	s_waitcnt lgkmcnt(1)
	v_mov_b32_e32 v1, v7
	s_waitcnt lgkmcnt(0)
	v_mov_b32_e32 v2, v6
.LBB14_456:
	s_or_b64 exec, exec, s[0:1]
	s_waitcnt lgkmcnt(0)
	v_lshlrev_b32_e32 v6, 2, v3
	v_or_b32_e32 v8, 0x80, v6
	ds_bpermute_b32 v9, v8, v33
	ds_bpermute_b32 v7, v8, v1
	;; [unrolled: 1-line block ×3, first 2 shown]
	v_add_u32_e32 v4, 32, v4
	v_cmp_lt_u32_e32 vcc, v4, v5
	v_mov_b32_e32 v4, v33
	s_and_saveexec_b64 s[0:1], vcc
	s_cbranch_execz .LBB14_464
; %bb.457:
	s_waitcnt lgkmcnt(2)
	v_and_b32_e32 v4, v33, v9
	v_and_b32_e32 v4, 1, v4
	v_cmp_eq_u32_e32 vcc, 1, v4
	s_and_saveexec_b64 s[2:3], vcc
	s_xor_b64 s[2:3], exec, s[2:3]
	s_cbranch_execz .LBB14_459
; %bb.458:
	s_waitcnt lgkmcnt(1)
	v_cmp_gt_f32_e32 vcc, v1, v7
	v_cndmask_b32_e32 v7, v1, v7, vcc
	s_waitcnt lgkmcnt(0)
	v_cmp_lt_f32_e32 vcc, v2, v8
	v_cndmask_b32_e32 v8, v2, v8, vcc
                                        ; implicit-def: $vgpr2
                                        ; implicit-def: $vgpr9
                                        ; implicit-def: $vgpr33
.LBB14_459:
	s_or_saveexec_b64 s[2:3], s[2:3]
	v_mov_b32_e32 v4, 1
	s_xor_b64 exec, exec, s[2:3]
	s_cbranch_execz .LBB14_463
; %bb.460:
	v_and_b32_e32 v4, 1, v33
	v_cmp_eq_u32_e32 vcc, 1, v4
	s_and_saveexec_b64 s[8:9], vcc
	s_cbranch_execz .LBB14_462
; %bb.461:
	v_mov_b32_e32 v9, 1
	s_waitcnt lgkmcnt(0)
	v_mov_b32_e32 v8, v2
	v_mov_b32_e32 v7, v1
.LBB14_462:
	s_or_b64 exec, exec, s[8:9]
	v_mov_b32_e32 v4, v9
.LBB14_463:
	s_or_b64 exec, exec, s[2:3]
	v_and_b32_e32 v33, 0xff, v4
	s_waitcnt lgkmcnt(0)
	v_mov_b32_e32 v2, v8
	v_mov_b32_e32 v1, v7
.LBB14_464:
	s_or_b64 exec, exec, s[0:1]
	v_cmp_eq_u32_e32 vcc, 0, v3
	s_and_saveexec_b64 s[0:1], vcc
	s_cbranch_execz .LBB14_466
; %bb.465:
	v_lshrrev_b32_e32 v5, 6, v0
	v_mul_u32_u24_e32 v5, 12, v5
	ds_write_b8 v5, v4
	ds_write2_b32 v5, v1, v2 offset0:1 offset1:2
.LBB14_466:
	s_or_b64 exec, exec, s[0:1]
	v_cmp_gt_u32_e32 vcc, 2, v0
	s_waitcnt lgkmcnt(0)
	s_barrier
	s_and_saveexec_b64 s[0:1], vcc
	s_cbranch_execz .LBB14_476
; %bb.467:
	v_mul_u32_u24_e32 v1, 12, v3
	ds_read_u8 v7, v1
	ds_read2_b32 v[1:2], v1 offset0:1 offset1:2
	v_or_b32_e32 v5, 4, v6
	s_add_i32 s10, s10, 63
	v_and_b32_e32 v3, 1, v3
	s_waitcnt lgkmcnt(1)
	v_and_b32_e32 v33, 0xff, v7
	s_waitcnt lgkmcnt(0)
	ds_bpermute_b32 v4, v5, v1
	ds_bpermute_b32 v6, v5, v33
	;; [unrolled: 1-line block ×3, first 2 shown]
	s_lshr_b32 s2, s10, 6
	v_add_u32_e32 v3, 1, v3
	v_cmp_gt_u32_e32 vcc, s2, v3
	s_and_saveexec_b64 s[2:3], vcc
	s_cbranch_execz .LBB14_475
; %bb.468:
	s_waitcnt lgkmcnt(1)
	v_and_b32_e32 v3, v33, v6
	v_and_b32_e32 v3, 1, v3
	v_cmp_eq_u32_e32 vcc, 1, v3
	s_and_saveexec_b64 s[8:9], vcc
	s_xor_b64 s[8:9], exec, s[8:9]
	s_cbranch_execz .LBB14_470
; %bb.469:
	v_cmp_gt_f32_e32 vcc, v1, v4
	v_cndmask_b32_e32 v4, v1, v4, vcc
	s_waitcnt lgkmcnt(0)
	v_cmp_lt_f32_e32 vcc, v2, v5
	v_cndmask_b32_e32 v5, v2, v5, vcc
                                        ; implicit-def: $vgpr2
                                        ; implicit-def: $vgpr6
                                        ; implicit-def: $vgpr7
.LBB14_470:
	s_or_saveexec_b64 s[8:9], s[8:9]
	v_mov_b32_e32 v33, 1
	s_xor_b64 exec, exec, s[8:9]
	s_cbranch_execz .LBB14_474
; %bb.471:
	v_and_b32_e32 v3, 1, v7
	v_cmp_eq_u32_e32 vcc, 1, v3
	s_and_saveexec_b64 s[10:11], vcc
	s_cbranch_execz .LBB14_473
; %bb.472:
	v_mov_b32_e32 v6, 1
	s_waitcnt lgkmcnt(0)
	v_mov_b32_e32 v5, v2
	v_mov_b32_e32 v4, v1
.LBB14_473:
	s_or_b64 exec, exec, s[10:11]
	v_mov_b32_e32 v33, v6
.LBB14_474:
	s_or_b64 exec, exec, s[8:9]
	s_waitcnt lgkmcnt(0)
	v_mov_b32_e32 v2, v5
	v_mov_b32_e32 v1, v4
.LBB14_475:
	s_or_b64 exec, exec, s[2:3]
.LBB14_476:
	s_or_b64 exec, exec, s[0:1]
.LBB14_477:
	v_cmp_eq_u32_e32 vcc, 0, v0
	s_mov_b64 s[18:19], 0
                                        ; implicit-def: $vgpr4
                                        ; implicit-def: $vgpr5
	s_and_saveexec_b64 s[0:1], vcc
	s_xor_b64 s[2:3], exec, s[0:1]
	s_cbranch_execz .LBB14_485
; %bb.478:
	s_cmp_eq_u64 s[38:39], 0
	s_waitcnt lgkmcnt(2)
	v_mov_b32_e32 v4, s41
	v_mov_b32_e32 v3, s40
	s_waitcnt lgkmcnt(0)
	v_mov_b32_e32 v5, s33
	s_cbranch_scc1 .LBB14_484
; %bb.479:
	s_bitcmp1_b32 s33, 0
	v_and_b32_e32 v3, 1, v33
	s_cselect_b64 vcc, -1, 0
	v_cmp_eq_u32_e64 s[0:1], 1, v3
	s_and_b64 s[0:1], vcc, s[0:1]
	s_xor_b64 s[0:1], s[0:1], -1
                                        ; implicit-def: $vgpr4
                                        ; implicit-def: $vgpr5
	s_and_saveexec_b64 s[8:9], s[0:1]
	s_xor_b64 s[0:1], exec, s[8:9]
; %bb.480:
	v_mov_b32_e32 v3, s40
	v_cndmask_b32_e32 v3, v1, v3, vcc
	v_mov_b32_e32 v1, s41
	v_cndmask_b32_e64 v5, v33, 1, vcc
	v_cndmask_b32_e32 v4, v2, v1, vcc
                                        ; implicit-def: $vgpr1
; %bb.481:
	s_andn2_saveexec_b64 s[0:1], s[0:1]
; %bb.482:
	v_mov_b32_e32 v3, s40
	v_cmp_gt_f32_e32 vcc, s40, v1
	v_cndmask_b32_e32 v3, v3, v1, vcc
	v_mov_b32_e32 v1, s41
	v_cmp_lt_f32_e32 vcc, s41, v2
	v_cndmask_b32_e32 v4, v1, v2, vcc
	v_mov_b32_e32 v5, 1
; %bb.483:
	s_or_b64 exec, exec, s[0:1]
.LBB14_484:
	s_mov_b64 s[18:19], exec
.LBB14_485:
	s_or_b64 exec, exec, s[2:3]
	s_and_b64 vcc, exec, s[42:43]
	s_cbranch_vccnz .LBB14_146
.LBB14_486:
	s_branch .LBB14_675
.LBB14_487:
	v_mad_u64_u32 v[25:26], s[16:17], v25, 12, s[16:17]
	global_load_ubyte v18, v[25:26], off
	global_load_dwordx2 v[3:4], v[25:26], off offset:4
	s_or_b64 exec, exec, s[20:21]
	s_and_saveexec_b64 s[20:21], s[14:15]
	s_cbranch_execz .LBB14_304
.LBB14_488:
	s_waitcnt vmcnt(1)
	v_and_b32_e32 v17, 1, v17
	v_cmp_eq_u32_e64 s[14:15], 1, v17
	v_and_b32_e32 v17, 1, v24
	v_cmp_eq_u32_e64 s[16:17], 1, v17
	s_and_b64 s[16:17], s[14:15], s[16:17]
	s_xor_b64 s[16:17], s[16:17], -1
                                        ; implicit-def: $vgpr17
	s_and_saveexec_b64 s[24:25], s[16:17]
	s_xor_b64 s[16:17], exec, s[24:25]
	s_cbranch_execz .LBB14_492
; %bb.489:
	s_xor_b64 s[24:25], s[14:15], -1
	v_mov_b32_e32 v17, 1
	s_and_saveexec_b64 s[14:15], s[24:25]
	s_cbranch_execz .LBB14_491
; %bb.490:
	v_and_b32_e32 v17, 0xff, v24
	s_waitcnt vmcnt(0)
	v_mov_b32_e32 v2, v16
	v_mov_b32_e32 v1, v15
.LBB14_491:
	s_or_b64 exec, exec, s[14:15]
                                        ; implicit-def: $vgpr15
.LBB14_492:
	s_andn2_saveexec_b64 s[16:17], s[16:17]
	s_cbranch_execz .LBB14_494
; %bb.493:
	s_waitcnt vmcnt(0)
	v_cmp_lt_f32_e64 s[14:15], v15, v1
	v_cndmask_b32_e64 v1, v1, v15, s[14:15]
	v_cmp_lt_f32_e64 s[14:15], v2, v16
	v_cndmask_b32_e64 v2, v2, v16, s[14:15]
	v_mov_b32_e32 v17, 1
.LBB14_494:
	s_or_b64 exec, exec, s[16:17]
	s_or_b64 exec, exec, s[20:21]
	s_and_saveexec_b64 s[16:17], s[12:13]
	s_cbranch_execz .LBB14_305
.LBB14_495:
	s_waitcnt vmcnt(0)
	v_and_b32_e32 v15, 1, v17
	v_cmp_eq_u32_e64 s[12:13], 1, v15
	v_and_b32_e32 v15, 1, v23
	v_cmp_eq_u32_e64 s[14:15], 1, v15
	s_and_b64 s[14:15], s[12:13], s[14:15]
	s_xor_b64 s[14:15], s[14:15], -1
                                        ; implicit-def: $vgpr17
	s_and_saveexec_b64 s[20:21], s[14:15]
	s_xor_b64 s[14:15], exec, s[20:21]
	s_cbranch_execz .LBB14_499
; %bb.496:
	s_xor_b64 s[20:21], s[12:13], -1
	v_mov_b32_e32 v17, 1
	s_and_saveexec_b64 s[12:13], s[20:21]
; %bb.497:
	v_and_b32_e32 v17, 0xff, v23
	v_mov_b32_e32 v2, v14
	v_mov_b32_e32 v1, v13
; %bb.498:
	s_or_b64 exec, exec, s[12:13]
                                        ; implicit-def: $vgpr13
.LBB14_499:
	s_andn2_saveexec_b64 s[14:15], s[14:15]
; %bb.500:
	v_cmp_lt_f32_e64 s[12:13], v13, v1
	v_cndmask_b32_e64 v1, v1, v13, s[12:13]
	v_cmp_lt_f32_e64 s[12:13], v2, v14
	v_cndmask_b32_e64 v2, v2, v14, s[12:13]
	v_mov_b32_e32 v17, 1
; %bb.501:
	s_or_b64 exec, exec, s[14:15]
	s_or_b64 exec, exec, s[16:17]
	s_and_saveexec_b64 s[14:15], s[10:11]
	s_cbranch_execz .LBB14_306
.LBB14_502:
	s_waitcnt vmcnt(0)
	v_and_b32_e32 v13, 1, v17
	v_cmp_eq_u32_e64 s[10:11], 1, v13
	v_and_b32_e32 v13, 1, v22
	v_cmp_eq_u32_e64 s[12:13], 1, v13
	s_and_b64 s[12:13], s[10:11], s[12:13]
	s_xor_b64 s[12:13], s[12:13], -1
                                        ; implicit-def: $vgpr17
	s_and_saveexec_b64 s[16:17], s[12:13]
	s_xor_b64 s[12:13], exec, s[16:17]
	s_cbranch_execz .LBB14_506
; %bb.503:
	s_xor_b64 s[16:17], s[10:11], -1
	v_mov_b32_e32 v17, 1
	s_and_saveexec_b64 s[10:11], s[16:17]
; %bb.504:
	v_and_b32_e32 v17, 0xff, v22
	v_mov_b32_e32 v2, v12
	v_mov_b32_e32 v1, v11
; %bb.505:
	s_or_b64 exec, exec, s[10:11]
                                        ; implicit-def: $vgpr11
.LBB14_506:
	s_andn2_saveexec_b64 s[12:13], s[12:13]
; %bb.507:
	v_cmp_lt_f32_e64 s[10:11], v11, v1
	v_cndmask_b32_e64 v1, v1, v11, s[10:11]
	v_cmp_lt_f32_e64 s[10:11], v2, v12
	v_cndmask_b32_e64 v2, v2, v12, s[10:11]
	v_mov_b32_e32 v17, 1
; %bb.508:
	s_or_b64 exec, exec, s[12:13]
	s_or_b64 exec, exec, s[14:15]
	s_and_saveexec_b64 s[12:13], s[8:9]
	s_cbranch_execz .LBB14_307
.LBB14_509:
	s_waitcnt vmcnt(0)
	v_and_b32_e32 v11, 1, v17
	v_cmp_eq_u32_e64 s[8:9], 1, v11
	v_and_b32_e32 v11, 1, v21
	v_cmp_eq_u32_e64 s[10:11], 1, v11
	s_and_b64 s[10:11], s[8:9], s[10:11]
	s_xor_b64 s[10:11], s[10:11], -1
                                        ; implicit-def: $vgpr17
	s_and_saveexec_b64 s[14:15], s[10:11]
	s_xor_b64 s[10:11], exec, s[14:15]
	s_cbranch_execz .LBB14_513
; %bb.510:
	s_xor_b64 s[14:15], s[8:9], -1
	v_mov_b32_e32 v17, 1
	s_and_saveexec_b64 s[8:9], s[14:15]
; %bb.511:
	v_and_b32_e32 v17, 0xff, v21
	v_mov_b32_e32 v2, v10
	v_mov_b32_e32 v1, v9
; %bb.512:
	s_or_b64 exec, exec, s[8:9]
                                        ; implicit-def: $vgpr9
.LBB14_513:
	s_andn2_saveexec_b64 s[10:11], s[10:11]
; %bb.514:
	v_cmp_lt_f32_e64 s[8:9], v9, v1
	v_cndmask_b32_e64 v1, v1, v9, s[8:9]
	v_cmp_lt_f32_e64 s[8:9], v2, v10
	v_cndmask_b32_e64 v2, v2, v10, s[8:9]
	v_mov_b32_e32 v17, 1
; %bb.515:
	s_or_b64 exec, exec, s[10:11]
	s_or_b64 exec, exec, s[12:13]
	s_and_saveexec_b64 s[10:11], s[2:3]
	s_cbranch_execz .LBB14_308
.LBB14_516:
	s_waitcnt vmcnt(0)
	v_and_b32_e32 v9, 1, v17
	v_cmp_eq_u32_e64 s[2:3], 1, v9
	v_and_b32_e32 v9, 1, v20
	v_cmp_eq_u32_e64 s[8:9], 1, v9
	s_and_b64 s[8:9], s[2:3], s[8:9]
	s_xor_b64 s[8:9], s[8:9], -1
                                        ; implicit-def: $vgpr17
	s_and_saveexec_b64 s[12:13], s[8:9]
	s_xor_b64 s[8:9], exec, s[12:13]
	s_cbranch_execz .LBB14_520
; %bb.517:
	s_xor_b64 s[12:13], s[2:3], -1
	v_mov_b32_e32 v17, 1
	s_and_saveexec_b64 s[2:3], s[12:13]
; %bb.518:
	v_and_b32_e32 v17, 0xff, v20
	v_mov_b32_e32 v2, v8
	v_mov_b32_e32 v1, v7
; %bb.519:
	s_or_b64 exec, exec, s[2:3]
                                        ; implicit-def: $vgpr7
.LBB14_520:
	s_andn2_saveexec_b64 s[8:9], s[8:9]
; %bb.521:
	v_cmp_lt_f32_e64 s[2:3], v7, v1
	v_cndmask_b32_e64 v1, v1, v7, s[2:3]
	v_cmp_lt_f32_e64 s[2:3], v2, v8
	v_cndmask_b32_e64 v2, v2, v8, s[2:3]
	v_mov_b32_e32 v17, 1
; %bb.522:
	s_or_b64 exec, exec, s[8:9]
	s_or_b64 exec, exec, s[10:11]
	s_and_saveexec_b64 s[8:9], s[0:1]
	s_cbranch_execz .LBB14_309
.LBB14_523:
	s_waitcnt vmcnt(0)
	v_and_b32_e32 v7, 1, v17
	v_cmp_eq_u32_e64 s[0:1], 1, v7
	v_and_b32_e32 v7, 1, v19
	v_cmp_eq_u32_e64 s[2:3], 1, v7
	s_and_b64 s[2:3], s[0:1], s[2:3]
	s_xor_b64 s[2:3], s[2:3], -1
                                        ; implicit-def: $vgpr17
	s_and_saveexec_b64 s[10:11], s[2:3]
	s_xor_b64 s[2:3], exec, s[10:11]
	s_cbranch_execz .LBB14_527
; %bb.524:
	s_xor_b64 s[10:11], s[0:1], -1
	v_mov_b32_e32 v17, 1
	s_and_saveexec_b64 s[0:1], s[10:11]
; %bb.525:
	v_and_b32_e32 v17, 0xff, v19
	v_mov_b32_e32 v2, v6
	v_mov_b32_e32 v1, v5
; %bb.526:
	s_or_b64 exec, exec, s[0:1]
                                        ; implicit-def: $vgpr5
.LBB14_527:
	s_andn2_saveexec_b64 s[2:3], s[2:3]
; %bb.528:
	v_cmp_lt_f32_e64 s[0:1], v5, v1
	v_cndmask_b32_e64 v1, v1, v5, s[0:1]
	v_cmp_lt_f32_e64 s[0:1], v2, v6
	v_cndmask_b32_e64 v2, v2, v6, s[0:1]
	v_mov_b32_e32 v17, 1
; %bb.529:
	s_or_b64 exec, exec, s[2:3]
	s_or_b64 exec, exec, s[8:9]
	s_and_saveexec_b64 s[2:3], vcc
	s_cbranch_execz .LBB14_537
.LBB14_530:
	s_waitcnt vmcnt(0)
	v_and_b32_e32 v5, 1, v17
	v_cmp_eq_u32_e32 vcc, 1, v5
	v_and_b32_e32 v5, 1, v18
	v_cmp_eq_u32_e64 s[0:1], 1, v5
	s_and_b64 s[0:1], vcc, s[0:1]
	s_xor_b64 s[0:1], s[0:1], -1
                                        ; implicit-def: $vgpr17
	s_and_saveexec_b64 s[8:9], s[0:1]
	s_xor_b64 s[0:1], exec, s[8:9]
	s_cbranch_execz .LBB14_534
; %bb.531:
	s_xor_b64 s[10:11], vcc, -1
	v_mov_b32_e32 v17, 1
	s_and_saveexec_b64 s[8:9], s[10:11]
; %bb.532:
	v_and_b32_e32 v17, 0xff, v18
	v_mov_b32_e32 v2, v4
	v_mov_b32_e32 v1, v3
; %bb.533:
	s_or_b64 exec, exec, s[8:9]
                                        ; implicit-def: $vgpr3
.LBB14_534:
	s_andn2_saveexec_b64 s[0:1], s[0:1]
; %bb.535:
	v_cmp_lt_f32_e32 vcc, v3, v1
	v_cndmask_b32_e32 v1, v1, v3, vcc
	v_cmp_lt_f32_e32 vcc, v2, v4
	v_cndmask_b32_e32 v2, v2, v4, vcc
	v_mov_b32_e32 v17, 1
; %bb.536:
	s_or_b64 exec, exec, s[0:1]
.LBB14_537:
	s_or_b64 exec, exec, s[2:3]
	s_waitcnt vmcnt(0)
	v_mbcnt_lo_u32_b32 v3, -1, 0
	v_mbcnt_hi_u32_b32 v3, -1, v3
	v_and_b32_e32 v4, 63, v3
	v_cmp_ne_u32_e32 vcc, 63, v4
	v_addc_co_u32_e32 v5, vcc, 0, v3, vcc
	v_lshlrev_b32_e32 v5, 2, v5
	ds_bpermute_b32 v8, v5, v17
	ds_bpermute_b32 v6, v5, v1
	;; [unrolled: 1-line block ×3, first 2 shown]
	s_min_u32 s10, s22, 0x80
	v_and_b32_e32 v5, 64, v0
	v_sub_u32_e64 v5, s10, v5 clamp
	v_add_u32_e32 v9, 1, v4
	v_cmp_lt_u32_e32 vcc, v9, v5
	s_and_saveexec_b64 s[0:1], vcc
	s_xor_b64 s[0:1], exec, s[0:1]
	s_cbranch_execz .LBB14_545
; %bb.538:
	s_waitcnt lgkmcnt(2)
	v_and_b32_e32 v9, v8, v17
	v_cmp_ne_u32_e32 vcc, 0, v9
	s_and_saveexec_b64 s[2:3], vcc
	s_xor_b64 s[2:3], exec, s[2:3]
	s_cbranch_execz .LBB14_540
; %bb.539:
	s_waitcnt lgkmcnt(1)
	v_cmp_gt_f32_e32 vcc, v1, v6
	v_cndmask_b32_e32 v6, v1, v6, vcc
	s_waitcnt lgkmcnt(0)
	v_cmp_lt_f32_e32 vcc, v2, v7
	v_cndmask_b32_e32 v7, v2, v7, vcc
                                        ; implicit-def: $vgpr2
                                        ; implicit-def: $vgpr8
                                        ; implicit-def: $vgpr17
.LBB14_540:
	s_or_saveexec_b64 s[2:3], s[2:3]
	v_mov_b32_e32 v9, 1
	s_xor_b64 exec, exec, s[2:3]
	s_cbranch_execz .LBB14_544
; %bb.541:
	v_and_b32_e32 v9, 1, v17
	v_cmp_eq_u32_e32 vcc, 1, v9
	s_and_saveexec_b64 s[8:9], vcc
	s_cbranch_execz .LBB14_543
; %bb.542:
	v_mov_b32_e32 v8, 1
	s_waitcnt lgkmcnt(0)
	v_mov_b32_e32 v7, v2
	v_mov_b32_e32 v6, v1
.LBB14_543:
	s_or_b64 exec, exec, s[8:9]
	v_mov_b32_e32 v9, v8
.LBB14_544:
	s_or_b64 exec, exec, s[2:3]
	v_and_b32_e32 v17, 0xff, v9
	s_waitcnt lgkmcnt(1)
	v_mov_b32_e32 v1, v6
	s_waitcnt lgkmcnt(0)
	v_mov_b32_e32 v2, v7
.LBB14_545:
	s_or_b64 exec, exec, s[0:1]
	v_cmp_gt_u32_e32 vcc, 62, v4
	s_waitcnt lgkmcnt(1)
	v_cndmask_b32_e64 v6, 0, 2, vcc
	v_add_lshl_u32 v6, v6, v3, 2
	ds_bpermute_b32 v8, v6, v17
	s_waitcnt lgkmcnt(1)
	ds_bpermute_b32 v7, v6, v1
	ds_bpermute_b32 v6, v6, v2
	v_add_u32_e32 v9, 2, v4
	v_cmp_lt_u32_e32 vcc, v9, v5
	s_and_saveexec_b64 s[0:1], vcc
	s_cbranch_execz .LBB14_553
; %bb.546:
	s_waitcnt lgkmcnt(2)
	v_and_b32_e32 v9, v17, v8
	v_and_b32_e32 v9, 1, v9
	v_cmp_eq_u32_e32 vcc, 1, v9
	s_and_saveexec_b64 s[2:3], vcc
	s_xor_b64 s[2:3], exec, s[2:3]
	s_cbranch_execz .LBB14_548
; %bb.547:
	s_waitcnt lgkmcnt(1)
	v_cmp_gt_f32_e32 vcc, v1, v7
	v_cndmask_b32_e32 v7, v1, v7, vcc
	s_waitcnt lgkmcnt(0)
	v_cmp_lt_f32_e32 vcc, v2, v6
	v_cndmask_b32_e32 v6, v2, v6, vcc
                                        ; implicit-def: $vgpr2
                                        ; implicit-def: $vgpr8
                                        ; implicit-def: $vgpr17
.LBB14_548:
	s_or_saveexec_b64 s[2:3], s[2:3]
	v_mov_b32_e32 v9, 1
	s_xor_b64 exec, exec, s[2:3]
	s_cbranch_execz .LBB14_552
; %bb.549:
	v_and_b32_e32 v9, 1, v17
	v_cmp_eq_u32_e32 vcc, 1, v9
	s_and_saveexec_b64 s[8:9], vcc
	s_cbranch_execz .LBB14_551
; %bb.550:
	v_mov_b32_e32 v8, 1
	s_waitcnt lgkmcnt(0)
	v_mov_b32_e32 v6, v2
	v_mov_b32_e32 v7, v1
.LBB14_551:
	s_or_b64 exec, exec, s[8:9]
	v_mov_b32_e32 v9, v8
.LBB14_552:
	s_or_b64 exec, exec, s[2:3]
	v_and_b32_e32 v17, 0xff, v9
	s_waitcnt lgkmcnt(1)
	v_mov_b32_e32 v1, v7
	s_waitcnt lgkmcnt(0)
	v_mov_b32_e32 v2, v6
.LBB14_553:
	s_or_b64 exec, exec, s[0:1]
	v_cmp_gt_u32_e32 vcc, 60, v4
	s_waitcnt lgkmcnt(0)
	v_cndmask_b32_e64 v6, 0, 4, vcc
	v_add_lshl_u32 v6, v6, v3, 2
	ds_bpermute_b32 v8, v6, v17
	ds_bpermute_b32 v7, v6, v1
	ds_bpermute_b32 v6, v6, v2
	v_add_u32_e32 v9, 4, v4
	v_cmp_lt_u32_e32 vcc, v9, v5
	s_and_saveexec_b64 s[0:1], vcc
	s_cbranch_execz .LBB14_561
; %bb.554:
	s_waitcnt lgkmcnt(2)
	v_and_b32_e32 v9, v17, v8
	v_and_b32_e32 v9, 1, v9
	v_cmp_eq_u32_e32 vcc, 1, v9
	s_and_saveexec_b64 s[2:3], vcc
	s_xor_b64 s[2:3], exec, s[2:3]
	s_cbranch_execz .LBB14_556
; %bb.555:
	s_waitcnt lgkmcnt(1)
	v_cmp_gt_f32_e32 vcc, v1, v7
	v_cndmask_b32_e32 v7, v1, v7, vcc
	s_waitcnt lgkmcnt(0)
	v_cmp_lt_f32_e32 vcc, v2, v6
	v_cndmask_b32_e32 v6, v2, v6, vcc
                                        ; implicit-def: $vgpr2
                                        ; implicit-def: $vgpr8
                                        ; implicit-def: $vgpr17
.LBB14_556:
	s_or_saveexec_b64 s[2:3], s[2:3]
	v_mov_b32_e32 v9, 1
	s_xor_b64 exec, exec, s[2:3]
	s_cbranch_execz .LBB14_560
; %bb.557:
	v_and_b32_e32 v9, 1, v17
	v_cmp_eq_u32_e32 vcc, 1, v9
	s_and_saveexec_b64 s[8:9], vcc
	s_cbranch_execz .LBB14_559
; %bb.558:
	v_mov_b32_e32 v8, 1
	s_waitcnt lgkmcnt(0)
	v_mov_b32_e32 v6, v2
	v_mov_b32_e32 v7, v1
.LBB14_559:
	s_or_b64 exec, exec, s[8:9]
	v_mov_b32_e32 v9, v8
.LBB14_560:
	s_or_b64 exec, exec, s[2:3]
	v_and_b32_e32 v17, 0xff, v9
	s_waitcnt lgkmcnt(1)
	v_mov_b32_e32 v1, v7
	s_waitcnt lgkmcnt(0)
	v_mov_b32_e32 v2, v6
.LBB14_561:
	s_or_b64 exec, exec, s[0:1]
	v_cmp_gt_u32_e32 vcc, 56, v4
	s_waitcnt lgkmcnt(0)
	v_cndmask_b32_e64 v6, 0, 8, vcc
	v_add_lshl_u32 v6, v6, v3, 2
	ds_bpermute_b32 v8, v6, v17
	;; [unrolled: 56-line block ×3, first 2 shown]
	ds_bpermute_b32 v7, v6, v1
	ds_bpermute_b32 v6, v6, v2
	v_add_u32_e32 v9, 16, v4
	v_cmp_lt_u32_e32 vcc, v9, v5
	s_and_saveexec_b64 s[0:1], vcc
	s_cbranch_execz .LBB14_577
; %bb.570:
	s_waitcnt lgkmcnt(2)
	v_and_b32_e32 v9, v17, v8
	v_and_b32_e32 v9, 1, v9
	v_cmp_eq_u32_e32 vcc, 1, v9
	s_and_saveexec_b64 s[2:3], vcc
	s_xor_b64 s[2:3], exec, s[2:3]
	s_cbranch_execz .LBB14_572
; %bb.571:
	s_waitcnt lgkmcnt(1)
	v_cmp_gt_f32_e32 vcc, v1, v7
	v_cndmask_b32_e32 v7, v1, v7, vcc
	s_waitcnt lgkmcnt(0)
	v_cmp_lt_f32_e32 vcc, v2, v6
	v_cndmask_b32_e32 v6, v2, v6, vcc
                                        ; implicit-def: $vgpr2
                                        ; implicit-def: $vgpr8
                                        ; implicit-def: $vgpr17
.LBB14_572:
	s_or_saveexec_b64 s[2:3], s[2:3]
	v_mov_b32_e32 v9, 1
	s_xor_b64 exec, exec, s[2:3]
	s_cbranch_execz .LBB14_576
; %bb.573:
	v_and_b32_e32 v9, 1, v17
	v_cmp_eq_u32_e32 vcc, 1, v9
	s_and_saveexec_b64 s[8:9], vcc
	s_cbranch_execz .LBB14_575
; %bb.574:
	v_mov_b32_e32 v8, 1
	s_waitcnt lgkmcnt(0)
	v_mov_b32_e32 v6, v2
	v_mov_b32_e32 v7, v1
.LBB14_575:
	s_or_b64 exec, exec, s[8:9]
	v_mov_b32_e32 v9, v8
.LBB14_576:
	s_or_b64 exec, exec, s[2:3]
	v_and_b32_e32 v17, 0xff, v9
	s_waitcnt lgkmcnt(1)
	v_mov_b32_e32 v1, v7
	s_waitcnt lgkmcnt(0)
	v_mov_b32_e32 v2, v6
.LBB14_577:
	s_or_b64 exec, exec, s[0:1]
	s_waitcnt lgkmcnt(0)
	v_lshlrev_b32_e32 v6, 2, v3
	v_or_b32_e32 v8, 0x80, v6
	ds_bpermute_b32 v9, v8, v17
	ds_bpermute_b32 v7, v8, v1
	;; [unrolled: 1-line block ×3, first 2 shown]
	v_add_u32_e32 v4, 32, v4
	v_cmp_lt_u32_e32 vcc, v4, v5
	v_mov_b32_e32 v4, v17
	s_and_saveexec_b64 s[0:1], vcc
	s_cbranch_execz .LBB14_585
; %bb.578:
	s_waitcnt lgkmcnt(2)
	v_and_b32_e32 v4, v17, v9
	v_and_b32_e32 v4, 1, v4
	v_cmp_eq_u32_e32 vcc, 1, v4
	s_and_saveexec_b64 s[2:3], vcc
	s_xor_b64 s[2:3], exec, s[2:3]
	s_cbranch_execz .LBB14_580
; %bb.579:
	s_waitcnt lgkmcnt(1)
	v_cmp_gt_f32_e32 vcc, v1, v7
	v_cndmask_b32_e32 v7, v1, v7, vcc
	s_waitcnt lgkmcnt(0)
	v_cmp_lt_f32_e32 vcc, v2, v8
	v_cndmask_b32_e32 v8, v2, v8, vcc
                                        ; implicit-def: $vgpr2
                                        ; implicit-def: $vgpr9
                                        ; implicit-def: $vgpr17
.LBB14_580:
	s_or_saveexec_b64 s[2:3], s[2:3]
	v_mov_b32_e32 v4, 1
	s_xor_b64 exec, exec, s[2:3]
	s_cbranch_execz .LBB14_584
; %bb.581:
	v_and_b32_e32 v4, 1, v17
	v_cmp_eq_u32_e32 vcc, 1, v4
	s_and_saveexec_b64 s[8:9], vcc
	s_cbranch_execz .LBB14_583
; %bb.582:
	v_mov_b32_e32 v9, 1
	s_waitcnt lgkmcnt(0)
	v_mov_b32_e32 v8, v2
	v_mov_b32_e32 v7, v1
.LBB14_583:
	s_or_b64 exec, exec, s[8:9]
	v_mov_b32_e32 v4, v9
.LBB14_584:
	s_or_b64 exec, exec, s[2:3]
	v_and_b32_e32 v17, 0xff, v4
	s_waitcnt lgkmcnt(0)
	v_mov_b32_e32 v2, v8
	v_mov_b32_e32 v1, v7
.LBB14_585:
	s_or_b64 exec, exec, s[0:1]
	v_cmp_eq_u32_e32 vcc, 0, v3
	s_and_saveexec_b64 s[0:1], vcc
	s_cbranch_execz .LBB14_587
; %bb.586:
	v_lshrrev_b32_e32 v5, 6, v0
	v_mul_u32_u24_e32 v5, 12, v5
	ds_write_b8 v5, v4
	ds_write2_b32 v5, v1, v2 offset0:1 offset1:2
.LBB14_587:
	s_or_b64 exec, exec, s[0:1]
	v_cmp_gt_u32_e32 vcc, 2, v0
	s_waitcnt lgkmcnt(0)
	s_barrier
	s_and_saveexec_b64 s[0:1], vcc
	s_cbranch_execz .LBB14_597
; %bb.588:
	v_mul_u32_u24_e32 v1, 12, v3
	ds_read_u8 v7, v1
	ds_read2_b32 v[1:2], v1 offset0:1 offset1:2
	v_or_b32_e32 v5, 4, v6
	s_add_i32 s10, s10, 63
	v_and_b32_e32 v3, 1, v3
	s_waitcnt lgkmcnt(1)
	v_and_b32_e32 v17, 0xff, v7
	s_waitcnt lgkmcnt(0)
	ds_bpermute_b32 v4, v5, v1
	ds_bpermute_b32 v6, v5, v17
	;; [unrolled: 1-line block ×3, first 2 shown]
	s_lshr_b32 s2, s10, 6
	v_add_u32_e32 v3, 1, v3
	v_cmp_gt_u32_e32 vcc, s2, v3
	s_and_saveexec_b64 s[2:3], vcc
	s_cbranch_execz .LBB14_596
; %bb.589:
	s_waitcnt lgkmcnt(1)
	v_and_b32_e32 v3, v17, v6
	v_and_b32_e32 v3, 1, v3
	v_cmp_eq_u32_e32 vcc, 1, v3
	s_and_saveexec_b64 s[8:9], vcc
	s_xor_b64 s[8:9], exec, s[8:9]
	s_cbranch_execz .LBB14_591
; %bb.590:
	v_cmp_gt_f32_e32 vcc, v1, v4
	v_cndmask_b32_e32 v4, v1, v4, vcc
	s_waitcnt lgkmcnt(0)
	v_cmp_lt_f32_e32 vcc, v2, v5
	v_cndmask_b32_e32 v5, v2, v5, vcc
                                        ; implicit-def: $vgpr2
                                        ; implicit-def: $vgpr6
                                        ; implicit-def: $vgpr7
.LBB14_591:
	s_or_saveexec_b64 s[8:9], s[8:9]
	v_mov_b32_e32 v17, 1
	s_xor_b64 exec, exec, s[8:9]
	s_cbranch_execz .LBB14_595
; %bb.592:
	v_and_b32_e32 v3, 1, v7
	v_cmp_eq_u32_e32 vcc, 1, v3
	s_and_saveexec_b64 s[10:11], vcc
	s_cbranch_execz .LBB14_594
; %bb.593:
	v_mov_b32_e32 v6, 1
	s_waitcnt lgkmcnt(0)
	v_mov_b32_e32 v5, v2
	v_mov_b32_e32 v4, v1
.LBB14_594:
	s_or_b64 exec, exec, s[10:11]
	v_mov_b32_e32 v17, v6
.LBB14_595:
	s_or_b64 exec, exec, s[8:9]
	s_waitcnt lgkmcnt(0)
	v_mov_b32_e32 v2, v5
	v_mov_b32_e32 v1, v4
.LBB14_596:
	s_or_b64 exec, exec, s[2:3]
.LBB14_597:
	s_or_b64 exec, exec, s[0:1]
.LBB14_598:
	v_cmp_eq_u32_e32 vcc, 0, v0
                                        ; implicit-def: $vgpr4
                                        ; implicit-def: $vgpr5
	s_and_saveexec_b64 s[0:1], vcc
	s_xor_b64 s[2:3], exec, s[0:1]
	s_cbranch_execz .LBB14_606
; %bb.599:
	s_cmp_eq_u64 s[38:39], 0
	s_waitcnt lgkmcnt(2)
	v_mov_b32_e32 v4, s41
	v_mov_b32_e32 v3, s40
	s_waitcnt lgkmcnt(0)
	v_mov_b32_e32 v5, s33
	s_cbranch_scc1 .LBB14_605
; %bb.600:
	s_bitcmp1_b32 s33, 0
	v_and_b32_e32 v3, 1, v17
	s_cselect_b64 vcc, -1, 0
	v_cmp_eq_u32_e64 s[0:1], 1, v3
	s_and_b64 s[0:1], vcc, s[0:1]
	s_xor_b64 s[0:1], s[0:1], -1
                                        ; implicit-def: $vgpr4
                                        ; implicit-def: $vgpr5
	s_and_saveexec_b64 s[8:9], s[0:1]
	s_xor_b64 s[0:1], exec, s[8:9]
; %bb.601:
	v_mov_b32_e32 v3, s40
	v_cndmask_b32_e32 v3, v1, v3, vcc
	v_mov_b32_e32 v1, s41
	v_cndmask_b32_e64 v5, v17, 1, vcc
	v_cndmask_b32_e32 v4, v2, v1, vcc
                                        ; implicit-def: $vgpr1
; %bb.602:
	s_andn2_saveexec_b64 s[0:1], s[0:1]
; %bb.603:
	v_mov_b32_e32 v3, s40
	v_cmp_gt_f32_e32 vcc, s40, v1
	v_cndmask_b32_e32 v3, v3, v1, vcc
	v_mov_b32_e32 v1, s41
	v_cmp_lt_f32_e32 vcc, s41, v2
	v_cndmask_b32_e32 v4, v1, v2, vcc
	v_mov_b32_e32 v5, 1
; %bb.604:
	s_or_b64 exec, exec, s[0:1]
.LBB14_605:
	s_or_b64 s[18:19], s[18:19], exec
.LBB14_606:
	s_or_b64 exec, exec, s[2:3]
	s_branch .LBB14_675
.LBB14_607:
	s_cmp_eq_u32 s46, 4
	s_cbranch_scc0 .LBB14_674
; %bb.608:
	s_lshl_b32 s12, s6, 9
	s_lshr_b64 s[0:1], s[38:39], 9
	s_mul_i32 s2, s6, 0x1800
	s_mul_hi_u32 s3, s12, 12
	s_add_u32 s8, s36, s2
	s_mov_b32 s7, 0
	s_addc_u32 s9, s37, s3
	s_cmp_lg_u64 s[0:1], s[6:7]
	s_cbranch_scc0 .LBB14_676
; %bb.609:
	v_mad_u64_u32 v[13:14], s[0:1], v0, 12, s[8:9]
	global_load_ubyte v12, v[13:14], off
	s_waitcnt lgkmcnt(0)
	global_load_dwordx2 v[1:2], v[13:14], off offset:4
	global_load_ubyte v11, v[13:14], off offset:1536
	global_load_dwordx2 v[7:8], v[13:14], off offset:1540
	v_add_co_u32_e32 v15, vcc, 0x1000, v13
	v_addc_co_u32_e32 v16, vcc, 0, v14, vcc
	global_load_ubyte v10, v[13:14], off offset:3072
	global_load_dwordx2 v[5:6], v[13:14], off offset:3076
	global_load_ubyte v9, v[15:16], off offset:512
	global_load_dwordx2 v[3:4], v[15:16], off offset:516
	s_waitcnt vmcnt(5)
	v_and_b32_e32 v13, v11, v12
	v_and_b32_e32 v13, 1, v13
	v_cmp_eq_u32_e32 vcc, 1, v13
	s_and_saveexec_b64 s[0:1], vcc
	s_xor_b64 s[0:1], exec, s[0:1]
	s_cbranch_execz .LBB14_611
; %bb.610:
	s_waitcnt vmcnt(4)
	v_cmp_lt_f32_e32 vcc, v7, v1
	v_cndmask_b32_e32 v1, v1, v7, vcc
	v_cmp_lt_f32_e32 vcc, v2, v8
	v_cndmask_b32_e32 v2, v2, v8, vcc
                                        ; implicit-def: $vgpr8
                                        ; implicit-def: $vgpr12
                                        ; implicit-def: $vgpr11
.LBB14_611:
	s_or_saveexec_b64 s[0:1], s[0:1]
	s_mov_b64 s[10:11], -1
	s_xor_b64 exec, exec, s[0:1]
	s_cbranch_execz .LBB14_615
; %bb.612:
	v_and_b32_e32 v12, 1, v12
	v_cmp_eq_u32_e32 vcc, 1, v12
	s_mov_b64 s[2:3], -1
	s_xor_b64 s[14:15], vcc, -1
	s_and_saveexec_b64 s[10:11], s[14:15]
	s_cbranch_execz .LBB14_614
; %bb.613:
	v_and_b32_e32 v1, 1, v11
	v_cmp_eq_u32_e32 vcc, 1, v1
	s_orn2_b64 s[2:3], vcc, exec
	s_waitcnt vmcnt(4)
	v_mov_b32_e32 v2, v8
	v_mov_b32_e32 v1, v7
.LBB14_614:
	s_or_b64 exec, exec, s[10:11]
	s_orn2_b64 s[10:11], s[2:3], exec
.LBB14_615:
	s_or_b64 exec, exec, s[0:1]
	s_waitcnt vmcnt(3)
	v_and_b32_e32 v7, 1, v10
	v_cmp_eq_u32_e32 vcc, 1, v7
	s_and_b64 s[0:1], s[10:11], vcc
	s_xor_b64 s[2:3], s[0:1], -1
                                        ; implicit-def: $sgpr0_sgpr1
	s_and_saveexec_b64 s[14:15], s[2:3]
	s_xor_b64 s[2:3], exec, s[14:15]
	s_cbranch_execz .LBB14_619
; %bb.616:
	s_xor_b64 s[14:15], s[10:11], -1
	s_mov_b64 s[0:1], -1
	s_and_saveexec_b64 s[10:11], s[14:15]
	s_cbranch_execz .LBB14_618
; %bb.617:
	s_orn2_b64 s[0:1], vcc, exec
	s_waitcnt vmcnt(2)
	v_mov_b32_e32 v2, v6
	v_mov_b32_e32 v1, v5
.LBB14_618:
	s_or_b64 exec, exec, s[10:11]
                                        ; implicit-def: $vgpr5_vgpr6
.LBB14_619:
	s_andn2_saveexec_b64 s[2:3], s[2:3]
	s_cbranch_execz .LBB14_621
; %bb.620:
	s_waitcnt vmcnt(2)
	v_cmp_lt_f32_e32 vcc, v5, v1
	v_cndmask_b32_e32 v1, v1, v5, vcc
	v_cmp_lt_f32_e32 vcc, v2, v6
	v_cndmask_b32_e32 v2, v2, v6, vcc
	s_or_b64 s[0:1], s[0:1], exec
.LBB14_621:
	s_or_b64 exec, exec, s[2:3]
	s_waitcnt vmcnt(1)
	v_and_b32_e32 v5, 1, v9
	v_cmp_eq_u32_e32 vcc, 1, v5
	s_and_b64 s[2:3], s[0:1], vcc
	s_xor_b64 s[2:3], s[2:3], -1
                                        ; implicit-def: $vgpr5
	s_and_saveexec_b64 s[10:11], s[2:3]
	s_xor_b64 s[2:3], exec, s[10:11]
	s_cbranch_execz .LBB14_625
; %bb.622:
	s_xor_b64 s[10:11], s[0:1], -1
	v_mov_b32_e32 v5, 1
	s_and_saveexec_b64 s[0:1], s[10:11]
	s_cbranch_execz .LBB14_624
; %bb.623:
	s_waitcnt vmcnt(0)
	v_mov_b32_e32 v2, v4
	v_mov_b32_e32 v1, v3
	;; [unrolled: 1-line block ×3, first 2 shown]
.LBB14_624:
	s_or_b64 exec, exec, s[0:1]
                                        ; implicit-def: $vgpr3_vgpr4
.LBB14_625:
	s_andn2_saveexec_b64 s[0:1], s[2:3]
	s_cbranch_execz .LBB14_627
; %bb.626:
	s_waitcnt vmcnt(0)
	v_cmp_lt_f32_e32 vcc, v3, v1
	v_cndmask_b32_e32 v1, v1, v3, vcc
	v_cmp_lt_f32_e32 vcc, v2, v4
	v_cndmask_b32_e32 v2, v2, v4, vcc
	v_mov_b32_e32 v5, 1
.LBB14_627:
	s_or_b64 exec, exec, s[0:1]
	v_and_b32_e32 v7, 0xff, v5
	v_and_b32_e32 v5, 1, v5
	v_cmp_eq_u32_e64 s[0:1], 1, v5
	v_mov_b32_dpp v6, v7 quad_perm:[1,0,3,2] row_mask:0xf bank_mask:0xf bound_ctrl:1
	v_and_b32_e32 v6, 1, v6
	v_cmp_eq_u32_e32 vcc, 1, v6
	s_and_b64 s[0:1], vcc, s[0:1]
	s_waitcnt vmcnt(0)
	v_mov_b32_dpp v3, v1 quad_perm:[1,0,3,2] row_mask:0xf bank_mask:0xf bound_ctrl:1
	v_mov_b32_dpp v4, v2 quad_perm:[1,0,3,2] row_mask:0xf bank_mask:0xf bound_ctrl:1
	s_xor_b64 s[0:1], s[0:1], -1
                                        ; implicit-def: $vgpr6
	s_and_saveexec_b64 s[2:3], s[0:1]
	s_xor_b64 s[0:1], exec, s[2:3]
	s_cbranch_execz .LBB14_631
; %bb.628:
	s_xor_b64 s[10:11], vcc, -1
	v_mov_b32_e32 v6, 1
	s_and_saveexec_b64 s[2:3], s[10:11]
; %bb.629:
	v_mov_b32_e32 v4, v2
	v_mov_b32_e32 v3, v1
	;; [unrolled: 1-line block ×3, first 2 shown]
; %bb.630:
	s_or_b64 exec, exec, s[2:3]
                                        ; implicit-def: $vgpr1
.LBB14_631:
	s_andn2_saveexec_b64 s[0:1], s[0:1]
; %bb.632:
	v_cmp_lt_f32_e32 vcc, v1, v3
	v_cndmask_b32_e32 v3, v3, v1, vcc
	v_cmp_gt_f32_e32 vcc, v2, v4
	v_cndmask_b32_e32 v4, v4, v2, vcc
	v_mov_b32_e32 v6, 1
; %bb.633:
	s_or_b64 exec, exec, s[0:1]
	s_nop 0
	v_mov_b32_dpp v2, v6 quad_perm:[2,3,0,1] row_mask:0xf bank_mask:0xf bound_ctrl:1
	v_and_b32_e32 v7, 1, v2
	v_and_b32_e32 v2, v2, v6
	;; [unrolled: 1-line block ×3, first 2 shown]
	v_mov_b32_dpp v1, v3 quad_perm:[2,3,0,1] row_mask:0xf bank_mask:0xf bound_ctrl:1
	v_mov_b32_dpp v5, v4 quad_perm:[2,3,0,1] row_mask:0xf bank_mask:0xf bound_ctrl:1
	v_cmp_ne_u32_e32 vcc, 1, v7
	v_cmp_ne_u32_e64 s[0:1], 1, v2
                                        ; implicit-def: $vgpr7
	s_and_saveexec_b64 s[2:3], s[0:1]
	s_xor_b64 s[0:1], exec, s[2:3]
	s_cbranch_execz .LBB14_637
; %bb.634:
	v_mov_b32_e32 v7, 1
	s_and_saveexec_b64 s[2:3], vcc
; %bb.635:
	v_mov_b32_e32 v5, v4
	v_mov_b32_e32 v1, v3
	;; [unrolled: 1-line block ×3, first 2 shown]
; %bb.636:
	s_or_b64 exec, exec, s[2:3]
                                        ; implicit-def: $vgpr3
                                        ; implicit-def: $vgpr4
.LBB14_637:
	s_andn2_saveexec_b64 s[0:1], s[0:1]
; %bb.638:
	v_cmp_lt_f32_e32 vcc, v3, v1
	v_cndmask_b32_e32 v1, v1, v3, vcc
	v_cmp_gt_f32_e32 vcc, v4, v5
	v_cndmask_b32_e32 v5, v5, v4, vcc
	v_mov_b32_e32 v7, 1
; %bb.639:
	s_or_b64 exec, exec, s[0:1]
	s_nop 0
	v_mov_b32_dpp v4, v7 row_ror:4 row_mask:0xf bank_mask:0xf bound_ctrl:1
	v_and_b32_e32 v6, 1, v4
	v_and_b32_e32 v4, v4, v7
	;; [unrolled: 1-line block ×3, first 2 shown]
	v_mov_b32_dpp v2, v1 row_ror:4 row_mask:0xf bank_mask:0xf bound_ctrl:1
	v_mov_b32_dpp v3, v5 row_ror:4 row_mask:0xf bank_mask:0xf bound_ctrl:1
	v_cmp_ne_u32_e32 vcc, 1, v6
	v_cmp_ne_u32_e64 s[0:1], 1, v4
                                        ; implicit-def: $vgpr6
	s_and_saveexec_b64 s[2:3], s[0:1]
	s_xor_b64 s[0:1], exec, s[2:3]
	s_cbranch_execz .LBB14_643
; %bb.640:
	v_mov_b32_e32 v6, 1
	s_and_saveexec_b64 s[2:3], vcc
; %bb.641:
	v_mov_b32_e32 v3, v5
	v_mov_b32_e32 v2, v1
	;; [unrolled: 1-line block ×3, first 2 shown]
; %bb.642:
	s_or_b64 exec, exec, s[2:3]
                                        ; implicit-def: $vgpr1
                                        ; implicit-def: $vgpr5
.LBB14_643:
	s_andn2_saveexec_b64 s[0:1], s[0:1]
; %bb.644:
	v_cmp_lt_f32_e32 vcc, v1, v2
	v_cndmask_b32_e32 v2, v2, v1, vcc
	v_cmp_gt_f32_e32 vcc, v5, v3
	v_cndmask_b32_e32 v3, v3, v5, vcc
	v_mov_b32_e32 v6, 1
; %bb.645:
	s_or_b64 exec, exec, s[0:1]
	s_nop 0
	v_mov_b32_dpp v5, v6 row_ror:8 row_mask:0xf bank_mask:0xf bound_ctrl:1
	v_and_b32_e32 v7, 1, v5
	v_and_b32_e32 v5, v5, v6
	;; [unrolled: 1-line block ×3, first 2 shown]
	v_mov_b32_dpp v1, v2 row_ror:8 row_mask:0xf bank_mask:0xf bound_ctrl:1
	v_mov_b32_dpp v4, v3 row_ror:8 row_mask:0xf bank_mask:0xf bound_ctrl:1
	v_cmp_ne_u32_e32 vcc, 1, v7
	v_cmp_ne_u32_e64 s[0:1], 1, v5
                                        ; implicit-def: $vgpr5
	s_and_saveexec_b64 s[2:3], s[0:1]
	s_xor_b64 s[0:1], exec, s[2:3]
	s_cbranch_execz .LBB14_649
; %bb.646:
	v_mov_b32_e32 v5, 1
	s_and_saveexec_b64 s[2:3], vcc
; %bb.647:
	v_mov_b32_e32 v4, v3
	v_mov_b32_e32 v1, v2
	;; [unrolled: 1-line block ×3, first 2 shown]
; %bb.648:
	s_or_b64 exec, exec, s[2:3]
                                        ; implicit-def: $vgpr2
                                        ; implicit-def: $vgpr3
.LBB14_649:
	s_andn2_saveexec_b64 s[0:1], s[0:1]
; %bb.650:
	v_cmp_lt_f32_e32 vcc, v2, v1
	v_cndmask_b32_e32 v1, v1, v2, vcc
	v_cmp_gt_f32_e32 vcc, v3, v4
	v_cndmask_b32_e32 v4, v4, v3, vcc
	v_mov_b32_e32 v5, 1
; %bb.651:
	s_or_b64 exec, exec, s[0:1]
	s_nop 0
	v_mov_b32_dpp v6, v5 row_bcast:15 row_mask:0xf bank_mask:0xf bound_ctrl:1
	v_and_b32_e32 v7, 1, v6
	v_and_b32_e32 v6, v6, v5
	;; [unrolled: 1-line block ×3, first 2 shown]
	v_mov_b32_dpp v2, v1 row_bcast:15 row_mask:0xf bank_mask:0xf bound_ctrl:1
	v_mov_b32_dpp v3, v4 row_bcast:15 row_mask:0xf bank_mask:0xf bound_ctrl:1
	v_cmp_ne_u32_e32 vcc, 1, v7
	v_cmp_ne_u32_e64 s[0:1], 1, v6
                                        ; implicit-def: $vgpr6
	s_and_saveexec_b64 s[2:3], s[0:1]
	s_xor_b64 s[0:1], exec, s[2:3]
	s_cbranch_execz .LBB14_655
; %bb.652:
	v_mov_b32_e32 v6, 1
	s_and_saveexec_b64 s[2:3], vcc
; %bb.653:
	v_mov_b32_e32 v3, v4
	v_mov_b32_e32 v2, v1
	;; [unrolled: 1-line block ×3, first 2 shown]
; %bb.654:
	s_or_b64 exec, exec, s[2:3]
                                        ; implicit-def: $vgpr1
                                        ; implicit-def: $vgpr4
.LBB14_655:
	s_andn2_saveexec_b64 s[0:1], s[0:1]
; %bb.656:
	v_cmp_lt_f32_e32 vcc, v1, v2
	v_cndmask_b32_e32 v2, v2, v1, vcc
	v_cmp_gt_f32_e32 vcc, v4, v3
	v_cndmask_b32_e32 v3, v3, v4, vcc
	v_mov_b32_e32 v6, 1
; %bb.657:
	s_or_b64 exec, exec, s[0:1]
	s_nop 0
	v_mov_b32_dpp v5, v6 row_bcast:31 row_mask:0xf bank_mask:0xf bound_ctrl:1
	v_and_b32_e32 v7, 1, v5
	v_and_b32_e32 v5, v5, v6
	v_and_b32_e32 v5, 1, v5
	v_mov_b32_dpp v1, v2 row_bcast:31 row_mask:0xf bank_mask:0xf bound_ctrl:1
	v_mov_b32_dpp v4, v3 row_bcast:31 row_mask:0xf bank_mask:0xf bound_ctrl:1
	v_cmp_ne_u32_e32 vcc, 1, v7
	v_cmp_ne_u32_e64 s[0:1], 1, v5
                                        ; implicit-def: $vgpr5
	s_and_saveexec_b64 s[2:3], s[0:1]
	s_xor_b64 s[0:1], exec, s[2:3]
	s_cbranch_execz .LBB14_661
; %bb.658:
	v_mov_b32_e32 v5, 1
	s_and_saveexec_b64 s[2:3], vcc
; %bb.659:
	v_mov_b32_e32 v4, v3
	v_mov_b32_e32 v1, v2
	;; [unrolled: 1-line block ×3, first 2 shown]
; %bb.660:
	s_or_b64 exec, exec, s[2:3]
                                        ; implicit-def: $vgpr2
                                        ; implicit-def: $vgpr3
.LBB14_661:
	s_andn2_saveexec_b64 s[0:1], s[0:1]
; %bb.662:
	v_cmp_lt_f32_e32 vcc, v2, v1
	v_cndmask_b32_e32 v1, v1, v2, vcc
	v_cmp_gt_f32_e32 vcc, v3, v4
	v_cndmask_b32_e32 v4, v4, v3, vcc
	v_mov_b32_e32 v5, 1
; %bb.663:
	s_or_b64 exec, exec, s[0:1]
	v_mbcnt_lo_u32_b32 v2, -1, 0
	v_mbcnt_hi_u32_b32 v3, -1, v2
	v_lshlrev_b32_e32 v7, 2, v3
	v_or_b32_e32 v2, 0xfc, v7
	ds_bpermute_b32 v9, v2, v5
	ds_bpermute_b32 v1, v2, v1
	;; [unrolled: 1-line block ×3, first 2 shown]
	v_cmp_eq_u32_e32 vcc, 0, v3
	s_and_saveexec_b64 s[0:1], vcc
	s_cbranch_execz .LBB14_665
; %bb.664:
	v_lshrrev_b32_e32 v4, 6, v0
	v_mul_u32_u24_e32 v4, 12, v4
	s_waitcnt lgkmcnt(2)
	ds_write_b8 v4, v9 offset:128
	s_waitcnt lgkmcnt(1)
	ds_write2_b32 v4, v1, v2 offset0:33 offset1:34
.LBB14_665:
	s_or_b64 exec, exec, s[0:1]
	v_cmp_gt_u32_e32 vcc, 64, v0
	s_waitcnt lgkmcnt(0)
	s_barrier
	s_and_saveexec_b64 s[0:1], vcc
	s_cbranch_execz .LBB14_673
; %bb.666:
	v_and_b32_e32 v1, 1, v3
	v_mul_u32_u24_e32 v1, 12, v1
	ds_read_u8 v6, v1 offset:128
	ds_read2_b32 v[3:4], v1 offset0:33 offset1:34
	v_or_b32_e32 v2, 4, v7
	s_waitcnt lgkmcnt(1)
	v_and_b32_e32 v1, 0xff, v6
	ds_bpermute_b32 v5, v2, v1
	s_waitcnt lgkmcnt(1)
	ds_bpermute_b32 v1, v2, v3
	ds_bpermute_b32 v2, v2, v4
	s_waitcnt lgkmcnt(2)
	v_and_b32_e32 v7, v6, v5
	v_and_b32_e32 v7, 1, v7
	v_cmp_eq_u32_e32 vcc, 1, v7
	s_and_saveexec_b64 s[2:3], vcc
	s_xor_b64 s[2:3], exec, s[2:3]
	s_cbranch_execz .LBB14_668
; %bb.667:
	s_waitcnt lgkmcnt(1)
	v_cmp_gt_f32_e32 vcc, v3, v1
	v_cndmask_b32_e32 v1, v3, v1, vcc
	s_waitcnt lgkmcnt(0)
	v_cmp_lt_f32_e32 vcc, v4, v2
	v_cndmask_b32_e32 v2, v4, v2, vcc
                                        ; implicit-def: $vgpr4
                                        ; implicit-def: $vgpr5
                                        ; implicit-def: $vgpr6
.LBB14_668:
	s_or_saveexec_b64 s[2:3], s[2:3]
	v_mov_b32_e32 v9, 1
	s_xor_b64 exec, exec, s[2:3]
	s_cbranch_execz .LBB14_672
; %bb.669:
	v_and_b32_e32 v6, 1, v6
	v_cmp_eq_u32_e32 vcc, 1, v6
	s_and_saveexec_b64 s[10:11], vcc
	s_cbranch_execz .LBB14_671
; %bb.670:
	v_mov_b32_e32 v5, 1
	s_waitcnt lgkmcnt(0)
	v_mov_b32_e32 v2, v4
	v_mov_b32_e32 v1, v3
.LBB14_671:
	s_or_b64 exec, exec, s[10:11]
	v_mov_b32_e32 v9, v5
.LBB14_672:
	s_or_b64 exec, exec, s[2:3]
.LBB14_673:
	s_or_b64 exec, exec, s[0:1]
	s_branch .LBB14_770
.LBB14_674:
                                        ; implicit-def: $vgpr4
                                        ; implicit-def: $vgpr5
.LBB14_675:
	s_branch .LBB14_970
.LBB14_676:
                                        ; implicit-def: $vgpr2
                                        ; implicit-def: $vgpr9
	s_cbranch_execz .LBB14_770
; %bb.677:
	s_sub_i32 s12, s38, s12
	v_cmp_gt_u32_e32 vcc, s12, v0
	v_mov_b32_e32 v9, 0
	v_mov_b32_e32 v8, 0
	s_waitcnt lgkmcnt(0)
	v_mov_b32_e32 v2, 0
	v_mov_b32_e32 v1, 0
	s_and_saveexec_b64 s[0:1], vcc
	s_cbranch_execz .LBB14_679
; %bb.678:
	v_mad_u64_u32 v[3:4], s[2:3], v0, 12, s[8:9]
	global_load_ubyte v9, v[3:4], off
	global_load_dwordx2 v[1:2], v[3:4], off offset:4
.LBB14_679:
	s_or_b64 exec, exec, s[0:1]
	v_or_b32_e32 v3, 0x80, v0
	v_cmp_gt_u32_e64 s[2:3], s12, v3
	v_mov_b32_e32 v7, 0
	v_mov_b32_e32 v12, 0
	s_and_saveexec_b64 s[0:1], s[2:3]
	s_cbranch_execz .LBB14_681
; %bb.680:
	v_mad_u64_u32 v[3:4], s[10:11], v0, 12, s[8:9]
	global_load_ubyte v12, v[3:4], off offset:1536
	global_load_dwordx2 v[7:8], v[3:4], off offset:1540
.LBB14_681:
	s_or_b64 exec, exec, s[0:1]
	v_or_b32_e32 v3, 0x100, v0
	v_cmp_gt_u32_e64 s[0:1], s12, v3
	v_mov_b32_e32 v11, 0
	v_mov_b32_e32 v10, 0
	;; [unrolled: 1-line block ×4, first 2 shown]
	s_and_saveexec_b64 s[10:11], s[0:1]
	s_cbranch_execz .LBB14_683
; %bb.682:
	v_mad_u64_u32 v[3:4], s[14:15], v0, 12, s[8:9]
	global_load_ubyte v11, v[3:4], off offset:3072
	global_load_dwordx2 v[5:6], v[3:4], off offset:3076
.LBB14_683:
	s_or_b64 exec, exec, s[10:11]
	v_or_b32_e32 v13, 0x180, v0
	v_cmp_gt_u32_e32 vcc, s12, v13
	v_mov_b32_e32 v3, 0
	v_mov_b32_e32 v4, 0
	s_and_saveexec_b64 s[10:11], vcc
	s_cbranch_execnz .LBB14_687
; %bb.684:
	s_or_b64 exec, exec, s[10:11]
	s_and_saveexec_b64 s[10:11], s[2:3]
	s_cbranch_execnz .LBB14_688
.LBB14_685:
	s_or_b64 exec, exec, s[10:11]
	s_and_saveexec_b64 s[8:9], s[0:1]
	s_cbranch_execnz .LBB14_695
.LBB14_686:
	s_or_b64 exec, exec, s[8:9]
	s_and_saveexec_b64 s[2:3], vcc
	s_cbranch_execnz .LBB14_702
	s_branch .LBB14_709
.LBB14_687:
	v_mad_u64_u32 v[13:14], s[8:9], v13, 12, s[8:9]
	global_load_ubyte v10, v[13:14], off
	global_load_dwordx2 v[3:4], v[13:14], off offset:4
	s_or_b64 exec, exec, s[10:11]
	s_and_saveexec_b64 s[10:11], s[2:3]
	s_cbranch_execz .LBB14_685
.LBB14_688:
	s_waitcnt vmcnt(1)
	v_and_b32_e32 v9, 1, v9
	v_cmp_eq_u32_e64 s[2:3], 1, v9
	v_and_b32_e32 v9, 1, v12
	v_cmp_eq_u32_e64 s[8:9], 1, v9
	s_and_b64 s[8:9], s[2:3], s[8:9]
	s_xor_b64 s[8:9], s[8:9], -1
                                        ; implicit-def: $vgpr9
	s_and_saveexec_b64 s[14:15], s[8:9]
	s_xor_b64 s[8:9], exec, s[14:15]
	s_cbranch_execz .LBB14_692
; %bb.689:
	s_xor_b64 s[14:15], s[2:3], -1
	v_mov_b32_e32 v9, 1
	s_and_saveexec_b64 s[2:3], s[14:15]
	s_cbranch_execz .LBB14_691
; %bb.690:
	v_and_b32_e32 v9, 0xff, v12
	s_waitcnt vmcnt(0)
	v_mov_b32_e32 v2, v8
	v_mov_b32_e32 v1, v7
.LBB14_691:
	s_or_b64 exec, exec, s[2:3]
                                        ; implicit-def: $vgpr7
.LBB14_692:
	s_andn2_saveexec_b64 s[8:9], s[8:9]
	s_cbranch_execz .LBB14_694
; %bb.693:
	s_waitcnt vmcnt(0)
	v_cmp_lt_f32_e64 s[2:3], v7, v1
	v_cndmask_b32_e64 v1, v1, v7, s[2:3]
	v_cmp_lt_f32_e64 s[2:3], v2, v8
	v_cndmask_b32_e64 v2, v2, v8, s[2:3]
	v_mov_b32_e32 v9, 1
.LBB14_694:
	s_or_b64 exec, exec, s[8:9]
	s_or_b64 exec, exec, s[10:11]
	s_and_saveexec_b64 s[8:9], s[0:1]
	s_cbranch_execz .LBB14_686
.LBB14_695:
	s_waitcnt vmcnt(0)
	v_and_b32_e32 v7, 1, v9
	v_cmp_eq_u32_e64 s[0:1], 1, v7
	v_and_b32_e32 v7, 1, v11
	v_cmp_eq_u32_e64 s[2:3], 1, v7
	s_and_b64 s[2:3], s[0:1], s[2:3]
	s_xor_b64 s[2:3], s[2:3], -1
                                        ; implicit-def: $vgpr9
	s_and_saveexec_b64 s[10:11], s[2:3]
	s_xor_b64 s[2:3], exec, s[10:11]
	s_cbranch_execz .LBB14_699
; %bb.696:
	s_xor_b64 s[10:11], s[0:1], -1
	v_mov_b32_e32 v9, 1
	s_and_saveexec_b64 s[0:1], s[10:11]
; %bb.697:
	v_and_b32_e32 v9, 0xff, v11
	v_mov_b32_e32 v2, v6
	v_mov_b32_e32 v1, v5
; %bb.698:
	s_or_b64 exec, exec, s[0:1]
                                        ; implicit-def: $vgpr5
.LBB14_699:
	s_andn2_saveexec_b64 s[2:3], s[2:3]
; %bb.700:
	v_cmp_lt_f32_e64 s[0:1], v5, v1
	v_cndmask_b32_e64 v1, v1, v5, s[0:1]
	v_cmp_lt_f32_e64 s[0:1], v2, v6
	v_cndmask_b32_e64 v2, v2, v6, s[0:1]
	v_mov_b32_e32 v9, 1
; %bb.701:
	s_or_b64 exec, exec, s[2:3]
	s_or_b64 exec, exec, s[8:9]
	s_and_saveexec_b64 s[2:3], vcc
	s_cbranch_execz .LBB14_709
.LBB14_702:
	s_waitcnt vmcnt(0)
	v_and_b32_e32 v5, 1, v9
	v_cmp_eq_u32_e32 vcc, 1, v5
	v_and_b32_e32 v5, 1, v10
	v_cmp_eq_u32_e64 s[0:1], 1, v5
	s_and_b64 s[0:1], vcc, s[0:1]
	s_xor_b64 s[0:1], s[0:1], -1
                                        ; implicit-def: $vgpr9
	s_and_saveexec_b64 s[8:9], s[0:1]
	s_xor_b64 s[0:1], exec, s[8:9]
	s_cbranch_execz .LBB14_706
; %bb.703:
	s_xor_b64 s[10:11], vcc, -1
	v_mov_b32_e32 v9, 1
	s_and_saveexec_b64 s[8:9], s[10:11]
; %bb.704:
	v_and_b32_e32 v9, 0xff, v10
	v_mov_b32_e32 v2, v4
	v_mov_b32_e32 v1, v3
; %bb.705:
	s_or_b64 exec, exec, s[8:9]
                                        ; implicit-def: $vgpr3
.LBB14_706:
	s_andn2_saveexec_b64 s[0:1], s[0:1]
; %bb.707:
	v_cmp_lt_f32_e32 vcc, v3, v1
	v_cndmask_b32_e32 v1, v1, v3, vcc
	v_cmp_lt_f32_e32 vcc, v2, v4
	v_cndmask_b32_e32 v2, v2, v4, vcc
	v_mov_b32_e32 v9, 1
; %bb.708:
	s_or_b64 exec, exec, s[0:1]
.LBB14_709:
	s_or_b64 exec, exec, s[2:3]
	s_waitcnt vmcnt(0)
	v_mbcnt_lo_u32_b32 v3, -1, 0
	v_mbcnt_hi_u32_b32 v3, -1, v3
	v_and_b32_e32 v4, 63, v3
	v_cmp_ne_u32_e32 vcc, 63, v4
	v_addc_co_u32_e32 v5, vcc, 0, v3, vcc
	v_lshlrev_b32_e32 v5, 2, v5
	ds_bpermute_b32 v8, v5, v9
	ds_bpermute_b32 v6, v5, v1
	;; [unrolled: 1-line block ×3, first 2 shown]
	s_min_u32 s10, s12, 0x80
	v_and_b32_e32 v5, 64, v0
	v_sub_u32_e64 v5, s10, v5 clamp
	v_add_u32_e32 v10, 1, v4
	v_cmp_lt_u32_e32 vcc, v10, v5
	s_and_saveexec_b64 s[0:1], vcc
	s_xor_b64 s[0:1], exec, s[0:1]
	s_cbranch_execz .LBB14_717
; %bb.710:
	s_waitcnt lgkmcnt(2)
	v_and_b32_e32 v10, v8, v9
	v_cmp_ne_u32_e32 vcc, 0, v10
	s_and_saveexec_b64 s[2:3], vcc
	s_xor_b64 s[2:3], exec, s[2:3]
	s_cbranch_execz .LBB14_712
; %bb.711:
	s_waitcnt lgkmcnt(1)
	v_cmp_gt_f32_e32 vcc, v1, v6
	v_cndmask_b32_e32 v6, v1, v6, vcc
	s_waitcnt lgkmcnt(0)
	v_cmp_lt_f32_e32 vcc, v2, v7
	v_cndmask_b32_e32 v7, v2, v7, vcc
                                        ; implicit-def: $vgpr2
                                        ; implicit-def: $vgpr8
                                        ; implicit-def: $vgpr9
.LBB14_712:
	s_or_saveexec_b64 s[2:3], s[2:3]
	v_mov_b32_e32 v10, 1
	s_xor_b64 exec, exec, s[2:3]
	s_cbranch_execz .LBB14_716
; %bb.713:
	v_and_b32_e32 v9, 1, v9
	v_cmp_eq_u32_e32 vcc, 1, v9
	s_and_saveexec_b64 s[8:9], vcc
	s_cbranch_execz .LBB14_715
; %bb.714:
	v_mov_b32_e32 v8, 1
	s_waitcnt lgkmcnt(0)
	v_mov_b32_e32 v7, v2
	v_mov_b32_e32 v6, v1
.LBB14_715:
	s_or_b64 exec, exec, s[8:9]
	v_mov_b32_e32 v10, v8
.LBB14_716:
	s_or_b64 exec, exec, s[2:3]
	v_and_b32_e32 v9, 0xff, v10
	s_waitcnt lgkmcnt(1)
	v_mov_b32_e32 v1, v6
	s_waitcnt lgkmcnt(0)
	v_mov_b32_e32 v2, v7
.LBB14_717:
	s_or_b64 exec, exec, s[0:1]
	v_cmp_gt_u32_e32 vcc, 62, v4
	s_waitcnt lgkmcnt(1)
	v_cndmask_b32_e64 v6, 0, 2, vcc
	v_add_lshl_u32 v6, v6, v3, 2
	ds_bpermute_b32 v8, v6, v9
	s_waitcnt lgkmcnt(1)
	ds_bpermute_b32 v7, v6, v1
	ds_bpermute_b32 v6, v6, v2
	v_add_u32_e32 v10, 2, v4
	v_cmp_lt_u32_e32 vcc, v10, v5
	s_and_saveexec_b64 s[0:1], vcc
	s_cbranch_execz .LBB14_725
; %bb.718:
	s_waitcnt lgkmcnt(2)
	v_and_b32_e32 v10, v9, v8
	v_and_b32_e32 v10, 1, v10
	v_cmp_eq_u32_e32 vcc, 1, v10
	s_and_saveexec_b64 s[2:3], vcc
	s_xor_b64 s[2:3], exec, s[2:3]
	s_cbranch_execz .LBB14_720
; %bb.719:
	s_waitcnt lgkmcnt(1)
	v_cmp_gt_f32_e32 vcc, v1, v7
	v_cndmask_b32_e32 v7, v1, v7, vcc
	s_waitcnt lgkmcnt(0)
	v_cmp_lt_f32_e32 vcc, v2, v6
	v_cndmask_b32_e32 v6, v2, v6, vcc
                                        ; implicit-def: $vgpr2
                                        ; implicit-def: $vgpr8
                                        ; implicit-def: $vgpr9
.LBB14_720:
	s_or_saveexec_b64 s[2:3], s[2:3]
	v_mov_b32_e32 v10, 1
	s_xor_b64 exec, exec, s[2:3]
	s_cbranch_execz .LBB14_724
; %bb.721:
	v_and_b32_e32 v9, 1, v9
	v_cmp_eq_u32_e32 vcc, 1, v9
	s_and_saveexec_b64 s[8:9], vcc
	s_cbranch_execz .LBB14_723
; %bb.722:
	v_mov_b32_e32 v8, 1
	s_waitcnt lgkmcnt(0)
	v_mov_b32_e32 v6, v2
	v_mov_b32_e32 v7, v1
.LBB14_723:
	s_or_b64 exec, exec, s[8:9]
	v_mov_b32_e32 v10, v8
.LBB14_724:
	s_or_b64 exec, exec, s[2:3]
	v_and_b32_e32 v9, 0xff, v10
	s_waitcnt lgkmcnt(1)
	v_mov_b32_e32 v1, v7
	s_waitcnt lgkmcnt(0)
	v_mov_b32_e32 v2, v6
.LBB14_725:
	s_or_b64 exec, exec, s[0:1]
	v_cmp_gt_u32_e32 vcc, 60, v4
	s_waitcnt lgkmcnt(0)
	v_cndmask_b32_e64 v6, 0, 4, vcc
	v_add_lshl_u32 v6, v6, v3, 2
	ds_bpermute_b32 v8, v6, v9
	ds_bpermute_b32 v7, v6, v1
	ds_bpermute_b32 v6, v6, v2
	v_add_u32_e32 v10, 4, v4
	v_cmp_lt_u32_e32 vcc, v10, v5
	s_and_saveexec_b64 s[0:1], vcc
	s_cbranch_execz .LBB14_733
; %bb.726:
	s_waitcnt lgkmcnt(2)
	v_and_b32_e32 v10, v9, v8
	v_and_b32_e32 v10, 1, v10
	v_cmp_eq_u32_e32 vcc, 1, v10
	s_and_saveexec_b64 s[2:3], vcc
	s_xor_b64 s[2:3], exec, s[2:3]
	s_cbranch_execz .LBB14_728
; %bb.727:
	s_waitcnt lgkmcnt(1)
	v_cmp_gt_f32_e32 vcc, v1, v7
	v_cndmask_b32_e32 v7, v1, v7, vcc
	s_waitcnt lgkmcnt(0)
	v_cmp_lt_f32_e32 vcc, v2, v6
	v_cndmask_b32_e32 v6, v2, v6, vcc
                                        ; implicit-def: $vgpr2
                                        ; implicit-def: $vgpr8
                                        ; implicit-def: $vgpr9
.LBB14_728:
	s_or_saveexec_b64 s[2:3], s[2:3]
	v_mov_b32_e32 v10, 1
	s_xor_b64 exec, exec, s[2:3]
	s_cbranch_execz .LBB14_732
; %bb.729:
	v_and_b32_e32 v9, 1, v9
	v_cmp_eq_u32_e32 vcc, 1, v9
	s_and_saveexec_b64 s[8:9], vcc
	s_cbranch_execz .LBB14_731
; %bb.730:
	v_mov_b32_e32 v8, 1
	s_waitcnt lgkmcnt(0)
	v_mov_b32_e32 v6, v2
	v_mov_b32_e32 v7, v1
.LBB14_731:
	s_or_b64 exec, exec, s[8:9]
	v_mov_b32_e32 v10, v8
.LBB14_732:
	s_or_b64 exec, exec, s[2:3]
	v_and_b32_e32 v9, 0xff, v10
	s_waitcnt lgkmcnt(1)
	v_mov_b32_e32 v1, v7
	s_waitcnt lgkmcnt(0)
	v_mov_b32_e32 v2, v6
.LBB14_733:
	s_or_b64 exec, exec, s[0:1]
	v_cmp_gt_u32_e32 vcc, 56, v4
	s_waitcnt lgkmcnt(0)
	v_cndmask_b32_e64 v6, 0, 8, vcc
	v_add_lshl_u32 v6, v6, v3, 2
	ds_bpermute_b32 v8, v6, v9
	ds_bpermute_b32 v7, v6, v1
	ds_bpermute_b32 v6, v6, v2
	v_add_u32_e32 v10, 8, v4
	v_cmp_lt_u32_e32 vcc, v10, v5
	s_and_saveexec_b64 s[0:1], vcc
	s_cbranch_execz .LBB14_741
; %bb.734:
	s_waitcnt lgkmcnt(2)
	v_and_b32_e32 v10, v9, v8
	v_and_b32_e32 v10, 1, v10
	v_cmp_eq_u32_e32 vcc, 1, v10
	s_and_saveexec_b64 s[2:3], vcc
	s_xor_b64 s[2:3], exec, s[2:3]
	s_cbranch_execz .LBB14_736
; %bb.735:
	s_waitcnt lgkmcnt(1)
	v_cmp_gt_f32_e32 vcc, v1, v7
	v_cndmask_b32_e32 v7, v1, v7, vcc
	s_waitcnt lgkmcnt(0)
	v_cmp_lt_f32_e32 vcc, v2, v6
	v_cndmask_b32_e32 v6, v2, v6, vcc
                                        ; implicit-def: $vgpr2
                                        ; implicit-def: $vgpr8
                                        ; implicit-def: $vgpr9
.LBB14_736:
	s_or_saveexec_b64 s[2:3], s[2:3]
	v_mov_b32_e32 v10, 1
	s_xor_b64 exec, exec, s[2:3]
	s_cbranch_execz .LBB14_740
; %bb.737:
	v_and_b32_e32 v9, 1, v9
	v_cmp_eq_u32_e32 vcc, 1, v9
	s_and_saveexec_b64 s[8:9], vcc
	s_cbranch_execz .LBB14_739
; %bb.738:
	v_mov_b32_e32 v8, 1
	s_waitcnt lgkmcnt(0)
	v_mov_b32_e32 v6, v2
	v_mov_b32_e32 v7, v1
.LBB14_739:
	s_or_b64 exec, exec, s[8:9]
	v_mov_b32_e32 v10, v8
.LBB14_740:
	s_or_b64 exec, exec, s[2:3]
	v_and_b32_e32 v9, 0xff, v10
	s_waitcnt lgkmcnt(1)
	v_mov_b32_e32 v1, v7
	s_waitcnt lgkmcnt(0)
	v_mov_b32_e32 v2, v6
.LBB14_741:
	s_or_b64 exec, exec, s[0:1]
	v_cmp_gt_u32_e32 vcc, 48, v4
	s_waitcnt lgkmcnt(0)
	v_cndmask_b32_e64 v6, 0, 16, vcc
	v_add_lshl_u32 v6, v6, v3, 2
	ds_bpermute_b32 v8, v6, v9
	ds_bpermute_b32 v7, v6, v1
	ds_bpermute_b32 v6, v6, v2
	v_add_u32_e32 v10, 16, v4
	v_cmp_lt_u32_e32 vcc, v10, v5
	s_and_saveexec_b64 s[0:1], vcc
	s_cbranch_execz .LBB14_749
; %bb.742:
	s_waitcnt lgkmcnt(2)
	v_and_b32_e32 v10, v9, v8
	v_and_b32_e32 v10, 1, v10
	v_cmp_eq_u32_e32 vcc, 1, v10
	s_and_saveexec_b64 s[2:3], vcc
	s_xor_b64 s[2:3], exec, s[2:3]
	s_cbranch_execz .LBB14_744
; %bb.743:
	s_waitcnt lgkmcnt(1)
	v_cmp_gt_f32_e32 vcc, v1, v7
	v_cndmask_b32_e32 v7, v1, v7, vcc
	s_waitcnt lgkmcnt(0)
	v_cmp_lt_f32_e32 vcc, v2, v6
	v_cndmask_b32_e32 v6, v2, v6, vcc
                                        ; implicit-def: $vgpr2
                                        ; implicit-def: $vgpr8
                                        ; implicit-def: $vgpr9
.LBB14_744:
	s_or_saveexec_b64 s[2:3], s[2:3]
	v_mov_b32_e32 v10, 1
	s_xor_b64 exec, exec, s[2:3]
	s_cbranch_execz .LBB14_748
; %bb.745:
	v_and_b32_e32 v9, 1, v9
	v_cmp_eq_u32_e32 vcc, 1, v9
	s_and_saveexec_b64 s[8:9], vcc
	s_cbranch_execz .LBB14_747
; %bb.746:
	v_mov_b32_e32 v8, 1
	s_waitcnt lgkmcnt(0)
	v_mov_b32_e32 v6, v2
	v_mov_b32_e32 v7, v1
.LBB14_747:
	s_or_b64 exec, exec, s[8:9]
	v_mov_b32_e32 v10, v8
.LBB14_748:
	s_or_b64 exec, exec, s[2:3]
	v_and_b32_e32 v9, 0xff, v10
	s_waitcnt lgkmcnt(1)
	v_mov_b32_e32 v1, v7
	s_waitcnt lgkmcnt(0)
	v_mov_b32_e32 v2, v6
.LBB14_749:
	s_or_b64 exec, exec, s[0:1]
	s_waitcnt lgkmcnt(0)
	v_lshlrev_b32_e32 v6, 2, v3
	v_or_b32_e32 v8, 0x80, v6
	ds_bpermute_b32 v10, v8, v9
	ds_bpermute_b32 v7, v8, v1
	;; [unrolled: 1-line block ×3, first 2 shown]
	v_add_u32_e32 v4, 32, v4
	v_cmp_lt_u32_e32 vcc, v4, v5
	v_mov_b32_e32 v4, v9
	s_and_saveexec_b64 s[0:1], vcc
	s_cbranch_execz .LBB14_757
; %bb.750:
	s_waitcnt lgkmcnt(2)
	v_and_b32_e32 v4, v9, v10
	v_and_b32_e32 v4, 1, v4
	v_cmp_eq_u32_e32 vcc, 1, v4
	s_and_saveexec_b64 s[2:3], vcc
	s_xor_b64 s[2:3], exec, s[2:3]
	s_cbranch_execz .LBB14_752
; %bb.751:
	s_waitcnt lgkmcnt(1)
	v_cmp_gt_f32_e32 vcc, v1, v7
	v_cndmask_b32_e32 v7, v1, v7, vcc
	s_waitcnt lgkmcnt(0)
	v_cmp_lt_f32_e32 vcc, v2, v8
	v_cndmask_b32_e32 v8, v2, v8, vcc
                                        ; implicit-def: $vgpr2
                                        ; implicit-def: $vgpr10
                                        ; implicit-def: $vgpr9
.LBB14_752:
	s_or_saveexec_b64 s[2:3], s[2:3]
	v_mov_b32_e32 v4, 1
	s_xor_b64 exec, exec, s[2:3]
	s_cbranch_execz .LBB14_756
; %bb.753:
	v_and_b32_e32 v4, 1, v9
	v_cmp_eq_u32_e32 vcc, 1, v4
	s_and_saveexec_b64 s[8:9], vcc
	s_cbranch_execz .LBB14_755
; %bb.754:
	v_mov_b32_e32 v10, 1
	s_waitcnt lgkmcnt(0)
	v_mov_b32_e32 v8, v2
	v_mov_b32_e32 v7, v1
.LBB14_755:
	s_or_b64 exec, exec, s[8:9]
	v_mov_b32_e32 v4, v10
.LBB14_756:
	s_or_b64 exec, exec, s[2:3]
	v_and_b32_e32 v9, 0xff, v4
	s_waitcnt lgkmcnt(0)
	v_mov_b32_e32 v2, v8
	v_mov_b32_e32 v1, v7
.LBB14_757:
	s_or_b64 exec, exec, s[0:1]
	v_cmp_eq_u32_e32 vcc, 0, v3
	s_and_saveexec_b64 s[0:1], vcc
	s_cbranch_execz .LBB14_759
; %bb.758:
	v_lshrrev_b32_e32 v5, 6, v0
	v_mul_u32_u24_e32 v5, 12, v5
	ds_write_b8 v5, v4
	ds_write2_b32 v5, v1, v2 offset0:1 offset1:2
.LBB14_759:
	s_or_b64 exec, exec, s[0:1]
	v_cmp_gt_u32_e32 vcc, 2, v0
	s_waitcnt lgkmcnt(0)
	s_barrier
	s_and_saveexec_b64 s[0:1], vcc
	s_cbranch_execz .LBB14_769
; %bb.760:
	v_mul_u32_u24_e32 v1, 12, v3
	ds_read_u8 v7, v1
	ds_read2_b32 v[1:2], v1 offset0:1 offset1:2
	v_or_b32_e32 v5, 4, v6
	s_add_i32 s10, s10, 63
	v_and_b32_e32 v3, 1, v3
	s_waitcnt lgkmcnt(1)
	v_and_b32_e32 v9, 0xff, v7
	s_waitcnt lgkmcnt(0)
	ds_bpermute_b32 v4, v5, v1
	ds_bpermute_b32 v6, v5, v9
	;; [unrolled: 1-line block ×3, first 2 shown]
	s_lshr_b32 s2, s10, 6
	v_add_u32_e32 v3, 1, v3
	v_cmp_gt_u32_e32 vcc, s2, v3
	s_and_saveexec_b64 s[2:3], vcc
	s_cbranch_execz .LBB14_768
; %bb.761:
	s_waitcnt lgkmcnt(1)
	v_and_b32_e32 v3, v9, v6
	v_and_b32_e32 v3, 1, v3
	v_cmp_eq_u32_e32 vcc, 1, v3
	s_and_saveexec_b64 s[8:9], vcc
	s_xor_b64 s[8:9], exec, s[8:9]
	s_cbranch_execz .LBB14_763
; %bb.762:
	v_cmp_gt_f32_e32 vcc, v1, v4
	v_cndmask_b32_e32 v4, v1, v4, vcc
	s_waitcnt lgkmcnt(0)
	v_cmp_lt_f32_e32 vcc, v2, v5
	v_cndmask_b32_e32 v5, v2, v5, vcc
                                        ; implicit-def: $vgpr2
                                        ; implicit-def: $vgpr6
                                        ; implicit-def: $vgpr7
.LBB14_763:
	s_or_saveexec_b64 s[8:9], s[8:9]
	v_mov_b32_e32 v9, 1
	s_xor_b64 exec, exec, s[8:9]
	s_cbranch_execz .LBB14_767
; %bb.764:
	v_and_b32_e32 v3, 1, v7
	v_cmp_eq_u32_e32 vcc, 1, v3
	s_and_saveexec_b64 s[10:11], vcc
	s_cbranch_execz .LBB14_766
; %bb.765:
	v_mov_b32_e32 v6, 1
	s_waitcnt lgkmcnt(0)
	v_mov_b32_e32 v5, v2
	v_mov_b32_e32 v4, v1
.LBB14_766:
	s_or_b64 exec, exec, s[10:11]
	v_mov_b32_e32 v9, v6
.LBB14_767:
	s_or_b64 exec, exec, s[8:9]
	s_waitcnt lgkmcnt(0)
	v_mov_b32_e32 v2, v5
	v_mov_b32_e32 v1, v4
.LBB14_768:
	s_or_b64 exec, exec, s[2:3]
.LBB14_769:
	s_or_b64 exec, exec, s[0:1]
.LBB14_770:
	v_cmp_eq_u32_e32 vcc, 0, v0
                                        ; implicit-def: $vgpr4
                                        ; implicit-def: $vgpr5
	s_and_saveexec_b64 s[0:1], vcc
	s_xor_b64 s[2:3], exec, s[0:1]
	s_cbranch_execz .LBB14_778
; %bb.771:
	s_cmp_eq_u64 s[38:39], 0
	s_waitcnt lgkmcnt(2)
	v_mov_b32_e32 v4, s41
	v_mov_b32_e32 v3, s40
	s_waitcnt lgkmcnt(0)
	v_mov_b32_e32 v5, s33
	s_cbranch_scc1 .LBB14_777
; %bb.772:
	s_bitcmp1_b32 s33, 0
	v_and_b32_e32 v3, 1, v9
	s_cselect_b64 vcc, -1, 0
	v_cmp_eq_u32_e64 s[0:1], 1, v3
	s_and_b64 s[0:1], vcc, s[0:1]
	s_xor_b64 s[0:1], s[0:1], -1
                                        ; implicit-def: $vgpr4
                                        ; implicit-def: $vgpr5
	s_and_saveexec_b64 s[8:9], s[0:1]
	s_xor_b64 s[0:1], exec, s[8:9]
; %bb.773:
	v_mov_b32_e32 v3, s40
	v_cndmask_b32_e32 v3, v1, v3, vcc
	v_mov_b32_e32 v1, s41
	v_cndmask_b32_e64 v5, v9, 1, vcc
	v_cndmask_b32_e32 v4, v2, v1, vcc
                                        ; implicit-def: $vgpr1
; %bb.774:
	s_andn2_saveexec_b64 s[0:1], s[0:1]
; %bb.775:
	v_mov_b32_e32 v3, s40
	v_cmp_gt_f32_e32 vcc, s40, v1
	v_cndmask_b32_e32 v3, v3, v1, vcc
	v_mov_b32_e32 v1, s41
	v_cmp_lt_f32_e32 vcc, s41, v2
	v_cndmask_b32_e32 v4, v1, v2, vcc
	v_mov_b32_e32 v5, 1
; %bb.776:
	s_or_b64 exec, exec, s[0:1]
.LBB14_777:
	s_or_b64 s[18:19], s[18:19], exec
.LBB14_778:
	s_or_b64 exec, exec, s[2:3]
	s_branch .LBB14_970
.LBB14_779:
	s_cmp_gt_i32 s46, 1
	s_cbranch_scc0 .LBB14_835
; %bb.780:
	s_cmp_eq_u32 s46, 2
	s_cbranch_scc0 .LBB14_836
; %bb.781:
	s_lshl_b32 s12, s6, 8
	s_lshr_b64 s[0:1], s[38:39], 8
	s_mul_i32 s2, s6, 0xc00
	s_mul_hi_u32 s3, s12, 12
	s_add_u32 s2, s36, s2
	s_mov_b32 s7, 0
	s_addc_u32 s3, s37, s3
	s_cmp_lg_u64 s[0:1], s[6:7]
	s_cbranch_scc0 .LBB14_837
; %bb.782:
	v_mad_u64_u32 v[7:8], s[0:1], v0, 12, s[2:3]
	s_waitcnt lgkmcnt(1)
	global_load_ubyte v6, v[7:8], off
	s_waitcnt lgkmcnt(0)
	global_load_ubyte v5, v[7:8], off offset:1536
	global_load_dwordx2 v[1:2], v[7:8], off offset:4
	global_load_dwordx2 v[3:4], v[7:8], off offset:1540
	s_waitcnt vmcnt(2)
	v_and_b32_e32 v7, v5, v6
	v_and_b32_e32 v7, 1, v7
	v_cmp_eq_u32_e32 vcc, 1, v7
	s_and_saveexec_b64 s[0:1], vcc
	s_xor_b64 s[0:1], exec, s[0:1]
	s_cbranch_execz .LBB14_784
; %bb.783:
	s_waitcnt vmcnt(0)
	v_cmp_lt_f32_e32 vcc, v3, v1
	v_cndmask_b32_e32 v1, v1, v3, vcc
	v_cmp_lt_f32_e32 vcc, v2, v4
	v_cndmask_b32_e32 v2, v2, v4, vcc
                                        ; implicit-def: $vgpr4
                                        ; implicit-def: $vgpr5
                                        ; implicit-def: $vgpr6
.LBB14_784:
	s_or_saveexec_b64 s[0:1], s[0:1]
	v_mov_b32_e32 v7, 1
	s_xor_b64 exec, exec, s[0:1]
	s_cbranch_execz .LBB14_788
; %bb.785:
	v_and_b32_e32 v6, 1, v6
	v_cmp_eq_u32_e32 vcc, 1, v6
	s_xor_b64 s[10:11], vcc, -1
	v_mov_b32_e32 v7, 1
	s_and_saveexec_b64 s[8:9], s[10:11]
	s_cbranch_execz .LBB14_787
; %bb.786:
	s_waitcnt vmcnt(0)
	v_mov_b32_e32 v2, v4
	v_mov_b32_e32 v1, v3
	;; [unrolled: 1-line block ×3, first 2 shown]
.LBB14_787:
	s_or_b64 exec, exec, s[8:9]
.LBB14_788:
	s_or_b64 exec, exec, s[0:1]
	v_and_b32_e32 v5, 0xff, v7
	s_waitcnt vmcnt(0)
	v_mov_b32_dpp v3, v1 quad_perm:[1,0,3,2] row_mask:0xf bank_mask:0xf bound_ctrl:1
	v_mov_b32_dpp v4, v2 quad_perm:[1,0,3,2] row_mask:0xf bank_mask:0xf bound_ctrl:1
	;; [unrolled: 1-line block ×3, first 2 shown]
	v_and_b32_e32 v6, 1, v6
	v_cmp_eq_u32_e32 vcc, 1, v6
	v_and_b32_e32 v6, 1, v7
	v_cmp_eq_u32_e64 s[0:1], 1, v6
	s_and_b64 s[0:1], vcc, s[0:1]
	s_xor_b64 s[0:1], s[0:1], -1
                                        ; implicit-def: $vgpr6
	s_and_saveexec_b64 s[8:9], s[0:1]
	s_xor_b64 s[0:1], exec, s[8:9]
	s_cbranch_execz .LBB14_792
; %bb.789:
	s_xor_b64 s[10:11], vcc, -1
	v_mov_b32_e32 v6, 1
	s_and_saveexec_b64 s[8:9], s[10:11]
; %bb.790:
	v_mov_b32_e32 v4, v2
	v_mov_b32_e32 v3, v1
	;; [unrolled: 1-line block ×3, first 2 shown]
; %bb.791:
	s_or_b64 exec, exec, s[8:9]
                                        ; implicit-def: $vgpr1
.LBB14_792:
	s_andn2_saveexec_b64 s[0:1], s[0:1]
; %bb.793:
	v_cmp_lt_f32_e32 vcc, v1, v3
	v_cndmask_b32_e32 v3, v3, v1, vcc
	v_cmp_gt_f32_e32 vcc, v2, v4
	v_cndmask_b32_e32 v4, v4, v2, vcc
	v_mov_b32_e32 v6, 1
; %bb.794:
	s_or_b64 exec, exec, s[0:1]
	s_nop 0
	v_mov_b32_dpp v2, v6 quad_perm:[2,3,0,1] row_mask:0xf bank_mask:0xf bound_ctrl:1
	v_and_b32_e32 v7, 1, v2
	v_and_b32_e32 v2, v2, v6
	;; [unrolled: 1-line block ×3, first 2 shown]
	v_mov_b32_dpp v1, v3 quad_perm:[2,3,0,1] row_mask:0xf bank_mask:0xf bound_ctrl:1
	v_mov_b32_dpp v5, v4 quad_perm:[2,3,0,1] row_mask:0xf bank_mask:0xf bound_ctrl:1
	v_cmp_ne_u32_e32 vcc, 1, v7
	v_cmp_ne_u32_e64 s[0:1], 1, v2
                                        ; implicit-def: $vgpr7
	s_and_saveexec_b64 s[8:9], s[0:1]
	s_xor_b64 s[0:1], exec, s[8:9]
	s_cbranch_execz .LBB14_798
; %bb.795:
	v_mov_b32_e32 v7, 1
	s_and_saveexec_b64 s[8:9], vcc
; %bb.796:
	v_mov_b32_e32 v5, v4
	v_mov_b32_e32 v1, v3
	;; [unrolled: 1-line block ×3, first 2 shown]
; %bb.797:
	s_or_b64 exec, exec, s[8:9]
                                        ; implicit-def: $vgpr3
                                        ; implicit-def: $vgpr4
.LBB14_798:
	s_andn2_saveexec_b64 s[0:1], s[0:1]
; %bb.799:
	v_cmp_lt_f32_e32 vcc, v3, v1
	v_cndmask_b32_e32 v1, v1, v3, vcc
	v_cmp_gt_f32_e32 vcc, v4, v5
	v_cndmask_b32_e32 v5, v5, v4, vcc
	v_mov_b32_e32 v7, 1
; %bb.800:
	s_or_b64 exec, exec, s[0:1]
	s_nop 0
	v_mov_b32_dpp v4, v7 row_ror:4 row_mask:0xf bank_mask:0xf bound_ctrl:1
	v_and_b32_e32 v6, 1, v4
	v_and_b32_e32 v4, v4, v7
	;; [unrolled: 1-line block ×3, first 2 shown]
	v_mov_b32_dpp v2, v1 row_ror:4 row_mask:0xf bank_mask:0xf bound_ctrl:1
	v_mov_b32_dpp v3, v5 row_ror:4 row_mask:0xf bank_mask:0xf bound_ctrl:1
	v_cmp_ne_u32_e32 vcc, 1, v6
	v_cmp_ne_u32_e64 s[0:1], 1, v4
                                        ; implicit-def: $vgpr6
	s_and_saveexec_b64 s[8:9], s[0:1]
	s_xor_b64 s[0:1], exec, s[8:9]
	s_cbranch_execz .LBB14_804
; %bb.801:
	v_mov_b32_e32 v6, 1
	s_and_saveexec_b64 s[8:9], vcc
; %bb.802:
	v_mov_b32_e32 v3, v5
	v_mov_b32_e32 v2, v1
	;; [unrolled: 1-line block ×3, first 2 shown]
; %bb.803:
	s_or_b64 exec, exec, s[8:9]
                                        ; implicit-def: $vgpr1
                                        ; implicit-def: $vgpr5
.LBB14_804:
	s_andn2_saveexec_b64 s[0:1], s[0:1]
; %bb.805:
	v_cmp_lt_f32_e32 vcc, v1, v2
	v_cndmask_b32_e32 v2, v2, v1, vcc
	v_cmp_gt_f32_e32 vcc, v5, v3
	v_cndmask_b32_e32 v3, v3, v5, vcc
	v_mov_b32_e32 v6, 1
; %bb.806:
	s_or_b64 exec, exec, s[0:1]
	s_nop 0
	v_mov_b32_dpp v5, v6 row_ror:8 row_mask:0xf bank_mask:0xf bound_ctrl:1
	v_and_b32_e32 v7, 1, v5
	v_and_b32_e32 v5, v5, v6
	;; [unrolled: 1-line block ×3, first 2 shown]
	v_mov_b32_dpp v1, v2 row_ror:8 row_mask:0xf bank_mask:0xf bound_ctrl:1
	v_mov_b32_dpp v4, v3 row_ror:8 row_mask:0xf bank_mask:0xf bound_ctrl:1
	v_cmp_ne_u32_e32 vcc, 1, v7
	v_cmp_ne_u32_e64 s[0:1], 1, v5
                                        ; implicit-def: $vgpr5
	s_and_saveexec_b64 s[8:9], s[0:1]
	s_xor_b64 s[0:1], exec, s[8:9]
	s_cbranch_execz .LBB14_810
; %bb.807:
	v_mov_b32_e32 v5, 1
	s_and_saveexec_b64 s[8:9], vcc
; %bb.808:
	v_mov_b32_e32 v4, v3
	v_mov_b32_e32 v1, v2
	;; [unrolled: 1-line block ×3, first 2 shown]
; %bb.809:
	s_or_b64 exec, exec, s[8:9]
                                        ; implicit-def: $vgpr2
                                        ; implicit-def: $vgpr3
.LBB14_810:
	s_andn2_saveexec_b64 s[0:1], s[0:1]
; %bb.811:
	v_cmp_lt_f32_e32 vcc, v2, v1
	v_cndmask_b32_e32 v1, v1, v2, vcc
	v_cmp_gt_f32_e32 vcc, v3, v4
	v_cndmask_b32_e32 v4, v4, v3, vcc
	v_mov_b32_e32 v5, 1
; %bb.812:
	s_or_b64 exec, exec, s[0:1]
	s_nop 0
	v_mov_b32_dpp v6, v5 row_bcast:15 row_mask:0xf bank_mask:0xf bound_ctrl:1
	v_and_b32_e32 v7, 1, v6
	v_and_b32_e32 v6, v6, v5
	;; [unrolled: 1-line block ×3, first 2 shown]
	v_mov_b32_dpp v2, v1 row_bcast:15 row_mask:0xf bank_mask:0xf bound_ctrl:1
	v_mov_b32_dpp v3, v4 row_bcast:15 row_mask:0xf bank_mask:0xf bound_ctrl:1
	v_cmp_ne_u32_e32 vcc, 1, v7
	v_cmp_ne_u32_e64 s[0:1], 1, v6
                                        ; implicit-def: $vgpr6
	s_and_saveexec_b64 s[8:9], s[0:1]
	s_xor_b64 s[0:1], exec, s[8:9]
	s_cbranch_execz .LBB14_816
; %bb.813:
	v_mov_b32_e32 v6, 1
	s_and_saveexec_b64 s[8:9], vcc
; %bb.814:
	v_mov_b32_e32 v3, v4
	v_mov_b32_e32 v2, v1
	;; [unrolled: 1-line block ×3, first 2 shown]
; %bb.815:
	s_or_b64 exec, exec, s[8:9]
                                        ; implicit-def: $vgpr1
                                        ; implicit-def: $vgpr4
.LBB14_816:
	s_andn2_saveexec_b64 s[0:1], s[0:1]
; %bb.817:
	v_cmp_lt_f32_e32 vcc, v1, v2
	v_cndmask_b32_e32 v2, v2, v1, vcc
	v_cmp_gt_f32_e32 vcc, v4, v3
	v_cndmask_b32_e32 v3, v3, v4, vcc
	v_mov_b32_e32 v6, 1
; %bb.818:
	s_or_b64 exec, exec, s[0:1]
	s_nop 0
	v_mov_b32_dpp v5, v6 row_bcast:31 row_mask:0xf bank_mask:0xf bound_ctrl:1
	v_and_b32_e32 v7, 1, v5
	v_and_b32_e32 v5, v5, v6
	;; [unrolled: 1-line block ×3, first 2 shown]
	v_mov_b32_dpp v1, v2 row_bcast:31 row_mask:0xf bank_mask:0xf bound_ctrl:1
	v_mov_b32_dpp v4, v3 row_bcast:31 row_mask:0xf bank_mask:0xf bound_ctrl:1
	v_cmp_ne_u32_e32 vcc, 1, v7
	v_cmp_ne_u32_e64 s[0:1], 1, v5
                                        ; implicit-def: $vgpr5
	s_and_saveexec_b64 s[8:9], s[0:1]
	s_xor_b64 s[0:1], exec, s[8:9]
	s_cbranch_execz .LBB14_822
; %bb.819:
	v_mov_b32_e32 v5, 1
	s_and_saveexec_b64 s[8:9], vcc
; %bb.820:
	v_mov_b32_e32 v4, v3
	v_mov_b32_e32 v1, v2
	;; [unrolled: 1-line block ×3, first 2 shown]
; %bb.821:
	s_or_b64 exec, exec, s[8:9]
                                        ; implicit-def: $vgpr2
                                        ; implicit-def: $vgpr3
.LBB14_822:
	s_andn2_saveexec_b64 s[0:1], s[0:1]
; %bb.823:
	v_cmp_lt_f32_e32 vcc, v2, v1
	v_cndmask_b32_e32 v1, v1, v2, vcc
	v_cmp_gt_f32_e32 vcc, v3, v4
	v_cndmask_b32_e32 v4, v4, v3, vcc
	v_mov_b32_e32 v5, 1
; %bb.824:
	s_or_b64 exec, exec, s[0:1]
	v_mbcnt_lo_u32_b32 v2, -1, 0
	v_mbcnt_hi_u32_b32 v3, -1, v2
	v_lshlrev_b32_e32 v8, 2, v3
	v_or_b32_e32 v2, 0xfc, v8
	ds_bpermute_b32 v6, v2, v5
	ds_bpermute_b32 v1, v2, v1
	;; [unrolled: 1-line block ×3, first 2 shown]
	v_cmp_eq_u32_e32 vcc, 0, v3
	s_and_saveexec_b64 s[0:1], vcc
	s_cbranch_execz .LBB14_826
; %bb.825:
	v_lshrrev_b32_e32 v4, 6, v0
	v_mul_u32_u24_e32 v4, 12, v4
	s_waitcnt lgkmcnt(2)
	ds_write_b8 v4, v6 offset:96
	s_waitcnt lgkmcnt(1)
	ds_write2_b32 v4, v1, v2 offset0:25 offset1:26
.LBB14_826:
	s_or_b64 exec, exec, s[0:1]
	v_cmp_gt_u32_e32 vcc, 64, v0
	s_waitcnt lgkmcnt(0)
	s_barrier
	s_and_saveexec_b64 s[0:1], vcc
	s_cbranch_execz .LBB14_834
; %bb.827:
	v_and_b32_e32 v1, 1, v3
	v_mul_u32_u24_e32 v1, 12, v1
	ds_read_u8 v7, v1 offset:96
	ds_read2_b32 v[3:4], v1 offset0:25 offset1:26
	v_or_b32_e32 v2, 4, v8
	s_waitcnt lgkmcnt(1)
	v_and_b32_e32 v1, 0xff, v7
	ds_bpermute_b32 v5, v2, v1
	s_waitcnt lgkmcnt(1)
	ds_bpermute_b32 v1, v2, v3
	ds_bpermute_b32 v2, v2, v4
	s_waitcnt lgkmcnt(2)
	v_and_b32_e32 v6, v7, v5
	v_and_b32_e32 v6, 1, v6
	v_cmp_eq_u32_e32 vcc, 1, v6
	s_and_saveexec_b64 s[8:9], vcc
	s_xor_b64 s[8:9], exec, s[8:9]
	s_cbranch_execz .LBB14_829
; %bb.828:
	s_waitcnt lgkmcnt(1)
	v_cmp_gt_f32_e32 vcc, v3, v1
	v_cndmask_b32_e32 v1, v3, v1, vcc
	s_waitcnt lgkmcnt(0)
	v_cmp_lt_f32_e32 vcc, v4, v2
	v_cndmask_b32_e32 v2, v4, v2, vcc
                                        ; implicit-def: $vgpr4
                                        ; implicit-def: $vgpr5
                                        ; implicit-def: $vgpr7
.LBB14_829:
	s_or_saveexec_b64 s[8:9], s[8:9]
	v_mov_b32_e32 v6, 1
	s_xor_b64 exec, exec, s[8:9]
	s_cbranch_execz .LBB14_833
; %bb.830:
	v_and_b32_e32 v6, 1, v7
	v_cmp_eq_u32_e32 vcc, 1, v6
	s_and_saveexec_b64 s[10:11], vcc
	s_cbranch_execz .LBB14_832
; %bb.831:
	v_mov_b32_e32 v5, 1
	s_waitcnt lgkmcnt(0)
	v_mov_b32_e32 v2, v4
	v_mov_b32_e32 v1, v3
.LBB14_832:
	s_or_b64 exec, exec, s[10:11]
	v_mov_b32_e32 v6, v5
.LBB14_833:
	s_or_b64 exec, exec, s[8:9]
.LBB14_834:
	s_or_b64 exec, exec, s[0:1]
	s_branch .LBB14_911
.LBB14_835:
                                        ; implicit-def: $vgpr4
                                        ; implicit-def: $vgpr5
	s_cbranch_execnz .LBB14_920
	s_branch .LBB14_970
.LBB14_836:
                                        ; implicit-def: $vgpr4
                                        ; implicit-def: $vgpr5
	s_branch .LBB14_970
.LBB14_837:
                                        ; implicit-def: $vgpr2
                                        ; implicit-def: $vgpr6
	s_cbranch_execz .LBB14_911
; %bb.838:
	s_sub_i32 s10, s38, s12
	v_cmp_gt_u32_e32 vcc, s10, v0
	v_mov_b32_e32 v7, 0
	v_mov_b32_e32 v3, 0
	s_waitcnt lgkmcnt(0)
	v_mov_b32_e32 v2, 0
	v_mov_b32_e32 v1, 0
	s_and_saveexec_b64 s[0:1], vcc
	s_cbranch_execz .LBB14_840
; %bb.839:
	v_mad_u64_u32 v[4:5], s[8:9], v0, 12, s[2:3]
	global_load_ubyte v7, v[4:5], off
	global_load_dwordx2 v[1:2], v[4:5], off offset:4
.LBB14_840:
	s_or_b64 exec, exec, s[0:1]
	v_or_b32_e32 v4, 0x80, v0
	v_cmp_gt_u32_e32 vcc, s10, v4
	v_mov_b32_e32 v5, 0
	v_mov_b32_e32 v4, 0
	s_and_saveexec_b64 s[0:1], vcc
	s_cbranch_execz .LBB14_842
; %bb.841:
	v_mad_u64_u32 v[8:9], s[2:3], v0, 12, s[2:3]
	global_load_ubyte v5, v[8:9], off offset:1536
	global_load_dwordx2 v[3:4], v[8:9], off offset:1540
.LBB14_842:
	s_or_b64 exec, exec, s[0:1]
	s_and_saveexec_b64 s[0:1], vcc
	s_cbranch_execz .LBB14_850
; %bb.843:
	s_waitcnt vmcnt(1)
	v_and_b32_e32 v6, v5, v7
	v_mov_b32_e32 v8, 0
	v_cmp_ne_u16_sdwa s[2:3], v6, v8 src0_sel:BYTE_0 src1_sel:DWORD
	s_and_saveexec_b64 s[8:9], s[2:3]
	s_xor_b64 s[2:3], exec, s[8:9]
	s_cbranch_execz .LBB14_845
; %bb.844:
	s_waitcnt vmcnt(0)
	v_cmp_lt_f32_e32 vcc, v3, v1
	v_cndmask_b32_e32 v1, v1, v3, vcc
	v_cmp_lt_f32_e32 vcc, v2, v4
	v_cndmask_b32_e32 v2, v2, v4, vcc
                                        ; implicit-def: $vgpr4
                                        ; implicit-def: $vgpr5
                                        ; implicit-def: $vgpr7
.LBB14_845:
	s_or_saveexec_b64 s[2:3], s[2:3]
	v_mov_b32_e32 v6, 1
	s_xor_b64 exec, exec, s[2:3]
	s_cbranch_execz .LBB14_849
; %bb.846:
	v_and_b32_e32 v6, 1, v7
	v_cmp_eq_u32_e32 vcc, 1, v6
	s_xor_b64 s[12:13], vcc, -1
	v_mov_b32_e32 v6, 1
	s_and_saveexec_b64 s[8:9], s[12:13]
	s_cbranch_execz .LBB14_848
; %bb.847:
	s_waitcnt vmcnt(0)
	v_mov_b32_e32 v2, v4
	v_mov_b32_e32 v1, v3
	;; [unrolled: 1-line block ×3, first 2 shown]
.LBB14_848:
	s_or_b64 exec, exec, s[8:9]
.LBB14_849:
	s_or_b64 exec, exec, s[2:3]
	v_mov_b32_e32 v7, v6
.LBB14_850:
	s_or_b64 exec, exec, s[0:1]
	s_waitcnt vmcnt(0)
	v_mbcnt_lo_u32_b32 v3, -1, 0
	v_mbcnt_hi_u32_b32 v3, -1, v3
	v_and_b32_e32 v4, 63, v3
	v_cmp_ne_u32_e32 vcc, 63, v4
	v_addc_co_u32_e32 v5, vcc, 0, v3, vcc
	v_and_b32_e32 v6, 0xff, v7
	v_lshlrev_b32_e32 v5, 2, v5
	ds_bpermute_b32 v10, v5, v6
	ds_bpermute_b32 v8, v5, v1
	;; [unrolled: 1-line block ×3, first 2 shown]
	s_min_u32 s10, s10, 0x80
	v_and_b32_e32 v5, 64, v0
	v_sub_u32_e64 v5, s10, v5 clamp
	v_add_u32_e32 v11, 1, v4
	v_cmp_lt_u32_e32 vcc, v11, v5
	s_and_saveexec_b64 s[0:1], vcc
	s_xor_b64 s[0:1], exec, s[0:1]
	s_cbranch_execz .LBB14_858
; %bb.851:
	s_waitcnt lgkmcnt(2)
	v_and_b32_e32 v6, v10, v6
	v_cmp_ne_u32_e32 vcc, 0, v6
	s_and_saveexec_b64 s[2:3], vcc
	s_xor_b64 s[2:3], exec, s[2:3]
	s_cbranch_execz .LBB14_853
; %bb.852:
	s_waitcnt lgkmcnt(1)
	v_cmp_gt_f32_e32 vcc, v1, v8
	v_cndmask_b32_e32 v8, v1, v8, vcc
	s_waitcnt lgkmcnt(0)
	v_cmp_lt_f32_e32 vcc, v2, v9
	v_cndmask_b32_e32 v9, v2, v9, vcc
                                        ; implicit-def: $vgpr2
                                        ; implicit-def: $vgpr10
                                        ; implicit-def: $vgpr7
.LBB14_853:
	s_or_saveexec_b64 s[2:3], s[2:3]
	v_mov_b32_e32 v6, 1
	s_xor_b64 exec, exec, s[2:3]
	s_cbranch_execz .LBB14_857
; %bb.854:
	v_and_b32_e32 v6, 1, v7
	v_cmp_eq_u32_e32 vcc, 1, v6
	s_and_saveexec_b64 s[8:9], vcc
	s_cbranch_execz .LBB14_856
; %bb.855:
	v_mov_b32_e32 v10, 1
	s_waitcnt lgkmcnt(0)
	v_mov_b32_e32 v9, v2
	v_mov_b32_e32 v8, v1
.LBB14_856:
	s_or_b64 exec, exec, s[8:9]
	v_mov_b32_e32 v6, v10
.LBB14_857:
	s_or_b64 exec, exec, s[2:3]
	v_and_b32_e32 v6, 0xff, v6
	s_waitcnt lgkmcnt(1)
	v_mov_b32_e32 v1, v8
	s_waitcnt lgkmcnt(0)
	v_mov_b32_e32 v2, v9
.LBB14_858:
	s_or_b64 exec, exec, s[0:1]
	v_cmp_gt_u32_e32 vcc, 62, v4
	v_cndmask_b32_e64 v7, 0, 2, vcc
	v_add_lshl_u32 v7, v7, v3, 2
	s_waitcnt lgkmcnt(0)
	ds_bpermute_b32 v9, v7, v6
	ds_bpermute_b32 v8, v7, v1
	ds_bpermute_b32 v7, v7, v2
	v_add_u32_e32 v10, 2, v4
	v_cmp_lt_u32_e32 vcc, v10, v5
	s_and_saveexec_b64 s[0:1], vcc
	s_cbranch_execz .LBB14_866
; %bb.859:
	s_waitcnt lgkmcnt(2)
	v_and_b32_e32 v10, v6, v9
	v_and_b32_e32 v10, 1, v10
	v_cmp_eq_u32_e32 vcc, 1, v10
	s_and_saveexec_b64 s[2:3], vcc
	s_xor_b64 s[2:3], exec, s[2:3]
	s_cbranch_execz .LBB14_861
; %bb.860:
	s_waitcnt lgkmcnt(1)
	v_cmp_gt_f32_e32 vcc, v1, v8
	v_cndmask_b32_e32 v8, v1, v8, vcc
	s_waitcnt lgkmcnt(0)
	v_cmp_lt_f32_e32 vcc, v2, v7
	v_cndmask_b32_e32 v7, v2, v7, vcc
                                        ; implicit-def: $vgpr2
                                        ; implicit-def: $vgpr9
                                        ; implicit-def: $vgpr6
.LBB14_861:
	s_or_saveexec_b64 s[2:3], s[2:3]
	v_mov_b32_e32 v10, 1
	s_xor_b64 exec, exec, s[2:3]
	s_cbranch_execz .LBB14_865
; %bb.862:
	v_and_b32_e32 v6, 1, v6
	v_cmp_eq_u32_e32 vcc, 1, v6
	s_and_saveexec_b64 s[8:9], vcc
	s_cbranch_execz .LBB14_864
; %bb.863:
	v_mov_b32_e32 v9, 1
	s_waitcnt lgkmcnt(0)
	v_mov_b32_e32 v7, v2
	v_mov_b32_e32 v8, v1
.LBB14_864:
	s_or_b64 exec, exec, s[8:9]
	v_mov_b32_e32 v10, v9
.LBB14_865:
	s_or_b64 exec, exec, s[2:3]
	v_and_b32_e32 v6, 0xff, v10
	s_waitcnt lgkmcnt(1)
	v_mov_b32_e32 v1, v8
	s_waitcnt lgkmcnt(0)
	v_mov_b32_e32 v2, v7
.LBB14_866:
	s_or_b64 exec, exec, s[0:1]
	v_cmp_gt_u32_e32 vcc, 60, v4
	s_waitcnt lgkmcnt(0)
	v_cndmask_b32_e64 v7, 0, 4, vcc
	v_add_lshl_u32 v7, v7, v3, 2
	ds_bpermute_b32 v9, v7, v6
	ds_bpermute_b32 v8, v7, v1
	ds_bpermute_b32 v7, v7, v2
	v_add_u32_e32 v10, 4, v4
	v_cmp_lt_u32_e32 vcc, v10, v5
	s_and_saveexec_b64 s[0:1], vcc
	s_cbranch_execz .LBB14_874
; %bb.867:
	s_waitcnt lgkmcnt(2)
	v_and_b32_e32 v10, v6, v9
	v_and_b32_e32 v10, 1, v10
	v_cmp_eq_u32_e32 vcc, 1, v10
	s_and_saveexec_b64 s[2:3], vcc
	s_xor_b64 s[2:3], exec, s[2:3]
	s_cbranch_execz .LBB14_869
; %bb.868:
	s_waitcnt lgkmcnt(1)
	v_cmp_gt_f32_e32 vcc, v1, v8
	v_cndmask_b32_e32 v8, v1, v8, vcc
	s_waitcnt lgkmcnt(0)
	v_cmp_lt_f32_e32 vcc, v2, v7
	v_cndmask_b32_e32 v7, v2, v7, vcc
                                        ; implicit-def: $vgpr2
                                        ; implicit-def: $vgpr9
                                        ; implicit-def: $vgpr6
.LBB14_869:
	s_or_saveexec_b64 s[2:3], s[2:3]
	v_mov_b32_e32 v10, 1
	s_xor_b64 exec, exec, s[2:3]
	s_cbranch_execz .LBB14_873
; %bb.870:
	v_and_b32_e32 v6, 1, v6
	v_cmp_eq_u32_e32 vcc, 1, v6
	s_and_saveexec_b64 s[8:9], vcc
	s_cbranch_execz .LBB14_872
; %bb.871:
	v_mov_b32_e32 v9, 1
	s_waitcnt lgkmcnt(0)
	v_mov_b32_e32 v7, v2
	v_mov_b32_e32 v8, v1
.LBB14_872:
	s_or_b64 exec, exec, s[8:9]
	v_mov_b32_e32 v10, v9
.LBB14_873:
	s_or_b64 exec, exec, s[2:3]
	v_and_b32_e32 v6, 0xff, v10
	s_waitcnt lgkmcnt(1)
	v_mov_b32_e32 v1, v8
	s_waitcnt lgkmcnt(0)
	v_mov_b32_e32 v2, v7
.LBB14_874:
	s_or_b64 exec, exec, s[0:1]
	v_cmp_gt_u32_e32 vcc, 56, v4
	s_waitcnt lgkmcnt(0)
	v_cndmask_b32_e64 v7, 0, 8, vcc
	v_add_lshl_u32 v7, v7, v3, 2
	;; [unrolled: 56-line block ×3, first 2 shown]
	ds_bpermute_b32 v9, v7, v6
	ds_bpermute_b32 v8, v7, v1
	;; [unrolled: 1-line block ×3, first 2 shown]
	v_add_u32_e32 v10, 16, v4
	v_cmp_lt_u32_e32 vcc, v10, v5
	s_and_saveexec_b64 s[0:1], vcc
	s_cbranch_execz .LBB14_890
; %bb.883:
	s_waitcnt lgkmcnt(2)
	v_and_b32_e32 v10, v6, v9
	v_and_b32_e32 v10, 1, v10
	v_cmp_eq_u32_e32 vcc, 1, v10
	s_and_saveexec_b64 s[2:3], vcc
	s_xor_b64 s[2:3], exec, s[2:3]
	s_cbranch_execz .LBB14_885
; %bb.884:
	s_waitcnt lgkmcnt(1)
	v_cmp_gt_f32_e32 vcc, v1, v8
	v_cndmask_b32_e32 v8, v1, v8, vcc
	s_waitcnt lgkmcnt(0)
	v_cmp_lt_f32_e32 vcc, v2, v7
	v_cndmask_b32_e32 v7, v2, v7, vcc
                                        ; implicit-def: $vgpr2
                                        ; implicit-def: $vgpr9
                                        ; implicit-def: $vgpr6
.LBB14_885:
	s_or_saveexec_b64 s[2:3], s[2:3]
	v_mov_b32_e32 v10, 1
	s_xor_b64 exec, exec, s[2:3]
	s_cbranch_execz .LBB14_889
; %bb.886:
	v_and_b32_e32 v6, 1, v6
	v_cmp_eq_u32_e32 vcc, 1, v6
	s_and_saveexec_b64 s[8:9], vcc
	s_cbranch_execz .LBB14_888
; %bb.887:
	v_mov_b32_e32 v9, 1
	s_waitcnt lgkmcnt(0)
	v_mov_b32_e32 v7, v2
	v_mov_b32_e32 v8, v1
.LBB14_888:
	s_or_b64 exec, exec, s[8:9]
	v_mov_b32_e32 v10, v9
.LBB14_889:
	s_or_b64 exec, exec, s[2:3]
	v_and_b32_e32 v6, 0xff, v10
	s_waitcnt lgkmcnt(1)
	v_mov_b32_e32 v1, v8
	s_waitcnt lgkmcnt(0)
	v_mov_b32_e32 v2, v7
.LBB14_890:
	s_or_b64 exec, exec, s[0:1]
	s_waitcnt lgkmcnt(0)
	v_lshlrev_b32_e32 v7, 2, v3
	v_or_b32_e32 v9, 0x80, v7
	ds_bpermute_b32 v10, v9, v6
	ds_bpermute_b32 v8, v9, v1
	;; [unrolled: 1-line block ×3, first 2 shown]
	v_add_u32_e32 v4, 32, v4
	v_cmp_lt_u32_e32 vcc, v4, v5
	v_mov_b32_e32 v4, v6
	s_and_saveexec_b64 s[0:1], vcc
	s_cbranch_execz .LBB14_898
; %bb.891:
	s_waitcnt lgkmcnt(2)
	v_and_b32_e32 v4, v6, v10
	v_and_b32_e32 v4, 1, v4
	v_cmp_eq_u32_e32 vcc, 1, v4
	s_and_saveexec_b64 s[2:3], vcc
	s_xor_b64 s[2:3], exec, s[2:3]
	s_cbranch_execz .LBB14_893
; %bb.892:
	s_waitcnt lgkmcnt(1)
	v_cmp_gt_f32_e32 vcc, v1, v8
	v_cndmask_b32_e32 v8, v1, v8, vcc
	s_waitcnt lgkmcnt(0)
	v_cmp_lt_f32_e32 vcc, v2, v9
	v_cndmask_b32_e32 v9, v2, v9, vcc
                                        ; implicit-def: $vgpr2
                                        ; implicit-def: $vgpr10
                                        ; implicit-def: $vgpr6
.LBB14_893:
	s_or_saveexec_b64 s[2:3], s[2:3]
	v_mov_b32_e32 v4, 1
	s_xor_b64 exec, exec, s[2:3]
	s_cbranch_execz .LBB14_897
; %bb.894:
	v_and_b32_e32 v4, 1, v6
	v_cmp_eq_u32_e32 vcc, 1, v4
	s_and_saveexec_b64 s[8:9], vcc
	s_cbranch_execz .LBB14_896
; %bb.895:
	v_mov_b32_e32 v10, 1
	s_waitcnt lgkmcnt(0)
	v_mov_b32_e32 v9, v2
	v_mov_b32_e32 v8, v1
.LBB14_896:
	s_or_b64 exec, exec, s[8:9]
	v_mov_b32_e32 v4, v10
.LBB14_897:
	s_or_b64 exec, exec, s[2:3]
	v_and_b32_e32 v6, 0xff, v4
	s_waitcnt lgkmcnt(0)
	v_mov_b32_e32 v2, v9
	v_mov_b32_e32 v1, v8
.LBB14_898:
	s_or_b64 exec, exec, s[0:1]
	v_cmp_eq_u32_e32 vcc, 0, v3
	s_and_saveexec_b64 s[0:1], vcc
	s_cbranch_execz .LBB14_900
; %bb.899:
	v_lshrrev_b32_e32 v5, 6, v0
	v_mul_u32_u24_e32 v5, 12, v5
	ds_write_b8 v5, v4
	ds_write2_b32 v5, v1, v2 offset0:1 offset1:2
.LBB14_900:
	s_or_b64 exec, exec, s[0:1]
	v_cmp_gt_u32_e32 vcc, 2, v0
	s_waitcnt lgkmcnt(0)
	s_barrier
	s_and_saveexec_b64 s[0:1], vcc
	s_cbranch_execz .LBB14_910
; %bb.901:
	v_mul_u32_u24_e32 v1, 12, v3
	ds_read_u8 v8, v1
	ds_read2_b32 v[1:2], v1 offset0:1 offset1:2
	v_or_b32_e32 v5, 4, v7
	s_add_i32 s10, s10, 63
	v_and_b32_e32 v3, 1, v3
	s_waitcnt lgkmcnt(1)
	v_and_b32_e32 v6, 0xff, v8
	s_waitcnt lgkmcnt(0)
	ds_bpermute_b32 v4, v5, v1
	ds_bpermute_b32 v7, v5, v6
	;; [unrolled: 1-line block ×3, first 2 shown]
	s_lshr_b32 s2, s10, 6
	v_add_u32_e32 v3, 1, v3
	v_cmp_gt_u32_e32 vcc, s2, v3
	s_and_saveexec_b64 s[2:3], vcc
	s_cbranch_execz .LBB14_909
; %bb.902:
	s_waitcnt lgkmcnt(1)
	v_and_b32_e32 v3, v6, v7
	v_and_b32_e32 v3, 1, v3
	v_cmp_eq_u32_e32 vcc, 1, v3
	s_and_saveexec_b64 s[8:9], vcc
	s_xor_b64 s[8:9], exec, s[8:9]
	s_cbranch_execz .LBB14_904
; %bb.903:
	v_cmp_gt_f32_e32 vcc, v1, v4
	v_cndmask_b32_e32 v4, v1, v4, vcc
	s_waitcnt lgkmcnt(0)
	v_cmp_lt_f32_e32 vcc, v2, v5
	v_cndmask_b32_e32 v5, v2, v5, vcc
                                        ; implicit-def: $vgpr2
                                        ; implicit-def: $vgpr7
                                        ; implicit-def: $vgpr8
.LBB14_904:
	s_or_saveexec_b64 s[8:9], s[8:9]
	v_mov_b32_e32 v6, 1
	s_xor_b64 exec, exec, s[8:9]
	s_cbranch_execz .LBB14_908
; %bb.905:
	v_and_b32_e32 v3, 1, v8
	v_cmp_eq_u32_e32 vcc, 1, v3
	s_and_saveexec_b64 s[10:11], vcc
	s_cbranch_execz .LBB14_907
; %bb.906:
	v_mov_b32_e32 v7, 1
	s_waitcnt lgkmcnt(0)
	v_mov_b32_e32 v5, v2
	v_mov_b32_e32 v4, v1
.LBB14_907:
	s_or_b64 exec, exec, s[10:11]
	v_mov_b32_e32 v6, v7
.LBB14_908:
	s_or_b64 exec, exec, s[8:9]
	s_waitcnt lgkmcnt(0)
	v_mov_b32_e32 v2, v5
	v_mov_b32_e32 v1, v4
.LBB14_909:
	s_or_b64 exec, exec, s[2:3]
.LBB14_910:
	s_or_b64 exec, exec, s[0:1]
.LBB14_911:
	v_cmp_eq_u32_e32 vcc, 0, v0
                                        ; implicit-def: $vgpr4
                                        ; implicit-def: $vgpr5
	s_and_saveexec_b64 s[0:1], vcc
	s_xor_b64 s[2:3], exec, s[0:1]
	s_cbranch_execz .LBB14_919
; %bb.912:
	s_cmp_eq_u64 s[38:39], 0
	s_waitcnt lgkmcnt(2)
	v_mov_b32_e32 v4, s41
	v_mov_b32_e32 v3, s40
	s_waitcnt lgkmcnt(0)
	v_mov_b32_e32 v5, s33
	s_cbranch_scc1 .LBB14_918
; %bb.913:
	s_bitcmp1_b32 s33, 0
	v_and_b32_e32 v3, 1, v6
	s_cselect_b64 vcc, -1, 0
	v_cmp_eq_u32_e64 s[0:1], 1, v3
	s_and_b64 s[0:1], vcc, s[0:1]
	s_xor_b64 s[0:1], s[0:1], -1
                                        ; implicit-def: $vgpr4
                                        ; implicit-def: $vgpr5
	s_and_saveexec_b64 s[8:9], s[0:1]
	s_xor_b64 s[0:1], exec, s[8:9]
; %bb.914:
	v_mov_b32_e32 v3, s40
	v_cndmask_b32_e32 v3, v1, v3, vcc
	v_mov_b32_e32 v1, s41
	v_cndmask_b32_e64 v5, v6, 1, vcc
	v_cndmask_b32_e32 v4, v2, v1, vcc
                                        ; implicit-def: $vgpr1
; %bb.915:
	s_andn2_saveexec_b64 s[0:1], s[0:1]
; %bb.916:
	v_mov_b32_e32 v3, s40
	v_cmp_gt_f32_e32 vcc, s40, v1
	v_cndmask_b32_e32 v3, v3, v1, vcc
	v_mov_b32_e32 v1, s41
	v_cmp_lt_f32_e32 vcc, s41, v2
	v_cndmask_b32_e32 v4, v1, v2, vcc
	v_mov_b32_e32 v5, 1
; %bb.917:
	s_or_b64 exec, exec, s[0:1]
.LBB14_918:
	s_or_b64 s[18:19], s[18:19], exec
.LBB14_919:
	s_or_b64 exec, exec, s[2:3]
	s_branch .LBB14_970
.LBB14_920:
	s_cmp_eq_u32 s46, 1
	s_cbranch_scc0 .LBB14_969
; %bb.921:
	s_lshl_b32 s10, s6, 7
	s_mov_b32 s7, 0
	s_lshr_b64 s[0:1], s[38:39], 7
	s_cmp_lg_u64 s[0:1], s[6:7]
	s_cbranch_scc0 .LBB14_973
; %bb.922:
	s_mul_i32 s0, s10, 12
	s_mul_hi_u32 s1, s10, 12
	s_add_u32 s0, s36, s0
	s_addc_u32 s1, s37, s1
	s_waitcnt lgkmcnt(2)
	v_mad_u64_u32 v[3:4], s[0:1], v0, 12, s[0:1]
	s_waitcnt lgkmcnt(1)
	global_load_ubyte v6, v[3:4], off
	s_waitcnt lgkmcnt(0)
	global_load_dwordx2 v[1:2], v[3:4], off offset:4
	s_waitcnt vmcnt(1)
	v_and_b32_e32 v5, 0xff, v6
	s_nop 1
	v_mov_b32_dpp v7, v5 quad_perm:[1,0,3,2] row_mask:0xf bank_mask:0xf bound_ctrl:1
	v_and_b32_e32 v6, 1, v6
	v_and_b32_e32 v7, 1, v7
	v_cmp_eq_u32_e32 vcc, 1, v7
	v_cmp_eq_u32_e64 s[0:1], 1, v6
	s_and_b64 s[0:1], vcc, s[0:1]
	s_waitcnt vmcnt(0)
	v_mov_b32_dpp v3, v1 quad_perm:[1,0,3,2] row_mask:0xf bank_mask:0xf bound_ctrl:1
	v_mov_b32_dpp v4, v2 quad_perm:[1,0,3,2] row_mask:0xf bank_mask:0xf bound_ctrl:1
	s_xor_b64 s[0:1], s[0:1], -1
                                        ; implicit-def: $vgpr7
	s_and_saveexec_b64 s[2:3], s[0:1]
	s_xor_b64 s[0:1], exec, s[2:3]
	s_cbranch_execz .LBB14_926
; %bb.923:
	s_xor_b64 s[8:9], vcc, -1
	v_mov_b32_e32 v7, 1
	s_and_saveexec_b64 s[2:3], s[8:9]
; %bb.924:
	v_mov_b32_e32 v4, v2
	v_mov_b32_e32 v3, v1
	v_mov_b32_e32 v7, v5
; %bb.925:
	s_or_b64 exec, exec, s[2:3]
                                        ; implicit-def: $vgpr1_vgpr2
.LBB14_926:
	s_andn2_saveexec_b64 s[0:1], s[0:1]
; %bb.927:
	v_cmp_lt_f32_e32 vcc, v1, v3
	v_cndmask_b32_e32 v3, v3, v1, vcc
	v_cmp_gt_f32_e32 vcc, v2, v4
	v_cndmask_b32_e32 v4, v4, v2, vcc
	v_mov_b32_e32 v7, 1
; %bb.928:
	s_or_b64 exec, exec, s[0:1]
	s_nop 0
	v_mov_b32_dpp v2, v7 quad_perm:[2,3,0,1] row_mask:0xf bank_mask:0xf bound_ctrl:1
	v_and_b32_e32 v6, 1, v2
	v_and_b32_e32 v2, v2, v7
	;; [unrolled: 1-line block ×3, first 2 shown]
	v_mov_b32_dpp v1, v3 quad_perm:[2,3,0,1] row_mask:0xf bank_mask:0xf bound_ctrl:1
	v_mov_b32_dpp v5, v4 quad_perm:[2,3,0,1] row_mask:0xf bank_mask:0xf bound_ctrl:1
	v_cmp_ne_u32_e32 vcc, 1, v6
	v_cmp_ne_u32_e64 s[0:1], 1, v2
                                        ; implicit-def: $vgpr6
	s_and_saveexec_b64 s[2:3], s[0:1]
	s_xor_b64 s[0:1], exec, s[2:3]
	s_cbranch_execz .LBB14_932
; %bb.929:
	v_mov_b32_e32 v6, 1
	s_and_saveexec_b64 s[2:3], vcc
; %bb.930:
	v_mov_b32_e32 v5, v4
	v_mov_b32_e32 v1, v3
	;; [unrolled: 1-line block ×3, first 2 shown]
; %bb.931:
	s_or_b64 exec, exec, s[2:3]
                                        ; implicit-def: $vgpr3
                                        ; implicit-def: $vgpr4
.LBB14_932:
	s_andn2_saveexec_b64 s[0:1], s[0:1]
; %bb.933:
	v_cmp_lt_f32_e32 vcc, v3, v1
	v_cndmask_b32_e32 v1, v1, v3, vcc
	v_cmp_gt_f32_e32 vcc, v4, v5
	v_cndmask_b32_e32 v5, v5, v4, vcc
	v_mov_b32_e32 v6, 1
; %bb.934:
	s_or_b64 exec, exec, s[0:1]
	s_nop 0
	v_mov_b32_dpp v4, v6 row_ror:4 row_mask:0xf bank_mask:0xf bound_ctrl:1
	v_and_b32_e32 v7, 1, v4
	v_and_b32_e32 v4, v4, v6
	;; [unrolled: 1-line block ×3, first 2 shown]
	v_mov_b32_dpp v2, v1 row_ror:4 row_mask:0xf bank_mask:0xf bound_ctrl:1
	v_mov_b32_dpp v3, v5 row_ror:4 row_mask:0xf bank_mask:0xf bound_ctrl:1
	v_cmp_ne_u32_e32 vcc, 1, v7
	v_cmp_ne_u32_e64 s[0:1], 1, v4
                                        ; implicit-def: $vgpr7
	s_and_saveexec_b64 s[2:3], s[0:1]
	s_xor_b64 s[0:1], exec, s[2:3]
	s_cbranch_execz .LBB14_938
; %bb.935:
	v_mov_b32_e32 v7, 1
	s_and_saveexec_b64 s[2:3], vcc
; %bb.936:
	v_mov_b32_e32 v3, v5
	v_mov_b32_e32 v2, v1
	;; [unrolled: 1-line block ×3, first 2 shown]
; %bb.937:
	s_or_b64 exec, exec, s[2:3]
                                        ; implicit-def: $vgpr1
                                        ; implicit-def: $vgpr5
.LBB14_938:
	s_andn2_saveexec_b64 s[0:1], s[0:1]
; %bb.939:
	v_cmp_lt_f32_e32 vcc, v1, v2
	v_cndmask_b32_e32 v2, v2, v1, vcc
	v_cmp_gt_f32_e32 vcc, v5, v3
	v_cndmask_b32_e32 v3, v3, v5, vcc
	v_mov_b32_e32 v7, 1
; %bb.940:
	s_or_b64 exec, exec, s[0:1]
	s_nop 0
	v_mov_b32_dpp v5, v7 row_ror:8 row_mask:0xf bank_mask:0xf bound_ctrl:1
	v_and_b32_e32 v6, 1, v5
	v_and_b32_e32 v5, v5, v7
	;; [unrolled: 1-line block ×3, first 2 shown]
	v_mov_b32_dpp v1, v2 row_ror:8 row_mask:0xf bank_mask:0xf bound_ctrl:1
	v_mov_b32_dpp v4, v3 row_ror:8 row_mask:0xf bank_mask:0xf bound_ctrl:1
	v_cmp_ne_u32_e32 vcc, 1, v6
	v_cmp_ne_u32_e64 s[0:1], 1, v5
                                        ; implicit-def: $vgpr5
	s_and_saveexec_b64 s[2:3], s[0:1]
	s_xor_b64 s[0:1], exec, s[2:3]
	s_cbranch_execz .LBB14_944
; %bb.941:
	v_mov_b32_e32 v5, 1
	s_and_saveexec_b64 s[2:3], vcc
; %bb.942:
	v_mov_b32_e32 v4, v3
	v_mov_b32_e32 v1, v2
	;; [unrolled: 1-line block ×3, first 2 shown]
; %bb.943:
	s_or_b64 exec, exec, s[2:3]
                                        ; implicit-def: $vgpr2
                                        ; implicit-def: $vgpr3
.LBB14_944:
	s_andn2_saveexec_b64 s[0:1], s[0:1]
; %bb.945:
	v_cmp_lt_f32_e32 vcc, v2, v1
	v_cndmask_b32_e32 v1, v1, v2, vcc
	v_cmp_gt_f32_e32 vcc, v3, v4
	v_cndmask_b32_e32 v4, v4, v3, vcc
	v_mov_b32_e32 v5, 1
; %bb.946:
	s_or_b64 exec, exec, s[0:1]
	s_nop 0
	v_mov_b32_dpp v6, v5 row_bcast:15 row_mask:0xf bank_mask:0xf bound_ctrl:1
	v_and_b32_e32 v7, 1, v6
	v_and_b32_e32 v6, v6, v5
	;; [unrolled: 1-line block ×3, first 2 shown]
	v_mov_b32_dpp v2, v1 row_bcast:15 row_mask:0xf bank_mask:0xf bound_ctrl:1
	v_mov_b32_dpp v3, v4 row_bcast:15 row_mask:0xf bank_mask:0xf bound_ctrl:1
	v_cmp_ne_u32_e32 vcc, 1, v7
	v_cmp_ne_u32_e64 s[0:1], 1, v6
                                        ; implicit-def: $vgpr6
	s_and_saveexec_b64 s[2:3], s[0:1]
	s_xor_b64 s[0:1], exec, s[2:3]
	s_cbranch_execz .LBB14_950
; %bb.947:
	v_mov_b32_e32 v6, 1
	s_and_saveexec_b64 s[2:3], vcc
; %bb.948:
	v_mov_b32_e32 v3, v4
	v_mov_b32_e32 v2, v1
	;; [unrolled: 1-line block ×3, first 2 shown]
; %bb.949:
	s_or_b64 exec, exec, s[2:3]
                                        ; implicit-def: $vgpr1
                                        ; implicit-def: $vgpr4
.LBB14_950:
	s_andn2_saveexec_b64 s[0:1], s[0:1]
; %bb.951:
	v_cmp_lt_f32_e32 vcc, v1, v2
	v_cndmask_b32_e32 v2, v2, v1, vcc
	v_cmp_gt_f32_e32 vcc, v4, v3
	v_cndmask_b32_e32 v3, v3, v4, vcc
	v_mov_b32_e32 v6, 1
; %bb.952:
	s_or_b64 exec, exec, s[0:1]
	s_nop 0
	v_mov_b32_dpp v5, v6 row_bcast:31 row_mask:0xf bank_mask:0xf bound_ctrl:1
	v_and_b32_e32 v7, 1, v5
	v_and_b32_e32 v5, v5, v6
	;; [unrolled: 1-line block ×3, first 2 shown]
	v_mov_b32_dpp v1, v2 row_bcast:31 row_mask:0xf bank_mask:0xf bound_ctrl:1
	v_mov_b32_dpp v4, v3 row_bcast:31 row_mask:0xf bank_mask:0xf bound_ctrl:1
	v_cmp_ne_u32_e32 vcc, 1, v7
	v_cmp_ne_u32_e64 s[0:1], 1, v5
                                        ; implicit-def: $vgpr5
	s_and_saveexec_b64 s[2:3], s[0:1]
	s_xor_b64 s[0:1], exec, s[2:3]
	s_cbranch_execz .LBB14_956
; %bb.953:
	v_mov_b32_e32 v5, 1
	s_and_saveexec_b64 s[2:3], vcc
; %bb.954:
	v_mov_b32_e32 v4, v3
	v_mov_b32_e32 v1, v2
	;; [unrolled: 1-line block ×3, first 2 shown]
; %bb.955:
	s_or_b64 exec, exec, s[2:3]
                                        ; implicit-def: $vgpr2
                                        ; implicit-def: $vgpr3
.LBB14_956:
	s_andn2_saveexec_b64 s[0:1], s[0:1]
; %bb.957:
	v_cmp_lt_f32_e32 vcc, v2, v1
	v_cndmask_b32_e32 v1, v1, v2, vcc
	v_cmp_gt_f32_e32 vcc, v3, v4
	v_cndmask_b32_e32 v4, v4, v3, vcc
	v_mov_b32_e32 v5, 1
; %bb.958:
	s_or_b64 exec, exec, s[0:1]
	v_mbcnt_lo_u32_b32 v2, -1, 0
	v_mbcnt_hi_u32_b32 v3, -1, v2
	v_lshlrev_b32_e32 v8, 2, v3
	v_or_b32_e32 v2, 0xfc, v8
	ds_bpermute_b32 v6, v2, v5
	ds_bpermute_b32 v1, v2, v1
	;; [unrolled: 1-line block ×3, first 2 shown]
	v_cmp_eq_u32_e32 vcc, 0, v3
	s_and_saveexec_b64 s[0:1], vcc
	s_cbranch_execz .LBB14_960
; %bb.959:
	v_lshrrev_b32_e32 v4, 6, v0
	v_mul_u32_u24_e32 v4, 12, v4
	s_waitcnt lgkmcnt(2)
	ds_write_b8 v4, v6 offset:64
	s_waitcnt lgkmcnt(1)
	ds_write2_b32 v4, v1, v2 offset0:17 offset1:18
.LBB14_960:
	s_or_b64 exec, exec, s[0:1]
	v_cmp_gt_u32_e32 vcc, 64, v0
	s_waitcnt lgkmcnt(0)
	s_barrier
	s_and_saveexec_b64 s[0:1], vcc
	s_cbranch_execz .LBB14_968
; %bb.961:
	v_and_b32_e32 v1, 1, v3
	v_mul_u32_u24_e32 v1, 12, v1
	ds_read_u8 v7, v1 offset:64
	ds_read2_b32 v[3:4], v1 offset0:17 offset1:18
	v_or_b32_e32 v2, 4, v8
	s_waitcnt lgkmcnt(1)
	v_and_b32_e32 v1, 0xff, v7
	ds_bpermute_b32 v5, v2, v1
	s_waitcnt lgkmcnt(1)
	ds_bpermute_b32 v1, v2, v3
	ds_bpermute_b32 v2, v2, v4
	s_waitcnt lgkmcnt(2)
	v_and_b32_e32 v6, v7, v5
	v_and_b32_e32 v6, 1, v6
	v_cmp_eq_u32_e32 vcc, 1, v6
	s_and_saveexec_b64 s[2:3], vcc
	s_xor_b64 s[2:3], exec, s[2:3]
	s_cbranch_execz .LBB14_963
; %bb.962:
	s_waitcnt lgkmcnt(1)
	v_cmp_gt_f32_e32 vcc, v3, v1
	v_cndmask_b32_e32 v1, v3, v1, vcc
	s_waitcnt lgkmcnt(0)
	v_cmp_lt_f32_e32 vcc, v4, v2
	v_cndmask_b32_e32 v2, v4, v2, vcc
                                        ; implicit-def: $vgpr4
                                        ; implicit-def: $vgpr5
                                        ; implicit-def: $vgpr7
.LBB14_963:
	s_or_saveexec_b64 s[2:3], s[2:3]
	v_mov_b32_e32 v6, 1
	s_xor_b64 exec, exec, s[2:3]
	s_cbranch_execz .LBB14_967
; %bb.964:
	v_and_b32_e32 v6, 1, v7
	v_cmp_eq_u32_e32 vcc, 1, v6
	s_and_saveexec_b64 s[8:9], vcc
	s_cbranch_execz .LBB14_966
; %bb.965:
	v_mov_b32_e32 v5, 1
	s_waitcnt lgkmcnt(0)
	v_mov_b32_e32 v2, v4
	v_mov_b32_e32 v1, v3
.LBB14_966:
	s_or_b64 exec, exec, s[8:9]
	v_mov_b32_e32 v6, v5
.LBB14_967:
	s_or_b64 exec, exec, s[2:3]
.LBB14_968:
	s_or_b64 exec, exec, s[0:1]
	s_branch .LBB14_1037
.LBB14_969:
                                        ; implicit-def: $vgpr4
                                        ; implicit-def: $vgpr5
                                        ; implicit-def: $sgpr6_sgpr7
.LBB14_970:
	s_and_saveexec_b64 s[0:1], s[18:19]
	s_cbranch_execz .LBB14_972
.LBB14_971:
	s_load_dwordx2 s[0:1], s[4:5], 0x18
	s_mul_i32 s2, s7, 12
	s_mul_hi_u32 s3, s6, 12
	s_mul_i32 s4, s6, 12
	s_add_i32 s3, s3, s2
	s_waitcnt lgkmcnt(0)
	s_add_u32 s0, s0, s4
	s_addc_u32 s1, s1, s3
	v_mov_b32_e32 v0, 0
	global_store_byte v0, v5, s[0:1]
	global_store_dwordx2 v0, v[3:4], s[0:1] offset:4
.LBB14_972:
	s_endpgm
.LBB14_973:
                                        ; implicit-def: $vgpr2
                                        ; implicit-def: $vgpr6
	s_cbranch_execz .LBB14_1037
; %bb.974:
	s_sub_i32 s2, s38, s10
	v_cmp_gt_u32_e32 vcc, s2, v0
	v_mov_b32_e32 v9, 0
	s_waitcnt lgkmcnt(1)
	v_mov_b32_e32 v1, 0
	s_waitcnt lgkmcnt(0)
	v_mov_b32_e32 v2, 0
	s_and_saveexec_b64 s[0:1], vcc
	s_cbranch_execz .LBB14_976
; %bb.975:
	s_mul_hi_u32 s3, s10, 12
	s_mul_i32 s10, s10, 12
	s_add_u32 s8, s36, s10
	s_addc_u32 s9, s37, s3
	v_mad_u64_u32 v[3:4], s[8:9], v0, 12, s[8:9]
	global_load_ubyte v9, v[3:4], off
	global_load_dwordx2 v[1:2], v[3:4], off offset:4
.LBB14_976:
	s_or_b64 exec, exec, s[0:1]
	v_mbcnt_lo_u32_b32 v3, -1, 0
	v_mbcnt_hi_u32_b32 v3, -1, v3
	v_and_b32_e32 v4, 63, v3
	v_cmp_ne_u32_e32 vcc, 63, v4
	v_addc_co_u32_e32 v5, vcc, 0, v3, vcc
	s_waitcnt vmcnt(1)
	v_and_b32_e32 v6, 0xff, v9
	v_lshlrev_b32_e32 v5, 2, v5
	ds_bpermute_b32 v10, v5, v6
	s_waitcnt vmcnt(0)
	ds_bpermute_b32 v7, v5, v1
	ds_bpermute_b32 v8, v5, v2
	s_min_u32 s10, s2, 0x80
	v_and_b32_e32 v5, 64, v0
	v_sub_u32_e64 v5, s10, v5 clamp
	v_add_u32_e32 v11, 1, v4
	v_cmp_lt_u32_e32 vcc, v11, v5
	s_and_saveexec_b64 s[0:1], vcc
	s_cbranch_execz .LBB14_984
; %bb.977:
	s_waitcnt lgkmcnt(2)
	v_and_b32_e32 v6, v10, v6
	v_cmp_ne_u32_e32 vcc, 0, v6
	s_and_saveexec_b64 s[2:3], vcc
	s_xor_b64 s[2:3], exec, s[2:3]
	s_cbranch_execz .LBB14_979
; %bb.978:
	s_waitcnt lgkmcnt(1)
	v_cmp_gt_f32_e32 vcc, v1, v7
	v_cndmask_b32_e32 v7, v1, v7, vcc
	s_waitcnt lgkmcnt(0)
	v_cmp_lt_f32_e32 vcc, v2, v8
	v_cndmask_b32_e32 v8, v2, v8, vcc
                                        ; implicit-def: $vgpr2
                                        ; implicit-def: $vgpr10
                                        ; implicit-def: $vgpr9
.LBB14_979:
	s_or_saveexec_b64 s[2:3], s[2:3]
	v_mov_b32_e32 v6, 1
	s_xor_b64 exec, exec, s[2:3]
	s_cbranch_execz .LBB14_983
; %bb.980:
	v_and_b32_e32 v6, 1, v9
	v_cmp_eq_u32_e32 vcc, 1, v6
	s_and_saveexec_b64 s[8:9], vcc
	s_cbranch_execz .LBB14_982
; %bb.981:
	v_mov_b32_e32 v10, 1
	s_waitcnt lgkmcnt(0)
	v_mov_b32_e32 v8, v2
	v_mov_b32_e32 v7, v1
.LBB14_982:
	s_or_b64 exec, exec, s[8:9]
	v_mov_b32_e32 v6, v10
.LBB14_983:
	s_or_b64 exec, exec, s[2:3]
	v_and_b32_e32 v6, 0xff, v6
	s_waitcnt lgkmcnt(1)
	v_mov_b32_e32 v1, v7
	s_waitcnt lgkmcnt(0)
	v_mov_b32_e32 v2, v8
.LBB14_984:
	s_or_b64 exec, exec, s[0:1]
	v_cmp_gt_u32_e32 vcc, 62, v4
	s_waitcnt lgkmcnt(1)
	v_cndmask_b32_e64 v7, 0, 2, vcc
	v_add_lshl_u32 v7, v7, v3, 2
	ds_bpermute_b32 v9, v7, v6
	s_waitcnt lgkmcnt(1)
	ds_bpermute_b32 v8, v7, v1
	ds_bpermute_b32 v7, v7, v2
	v_add_u32_e32 v10, 2, v4
	v_cmp_lt_u32_e32 vcc, v10, v5
	s_and_saveexec_b64 s[0:1], vcc
	s_cbranch_execz .LBB14_992
; %bb.985:
	s_waitcnt lgkmcnt(2)
	v_and_b32_e32 v10, v6, v9
	v_and_b32_e32 v10, 1, v10
	v_cmp_eq_u32_e32 vcc, 1, v10
	s_and_saveexec_b64 s[2:3], vcc
	s_xor_b64 s[2:3], exec, s[2:3]
	s_cbranch_execz .LBB14_987
; %bb.986:
	s_waitcnt lgkmcnt(1)
	v_cmp_gt_f32_e32 vcc, v1, v8
	v_cndmask_b32_e32 v8, v1, v8, vcc
	s_waitcnt lgkmcnt(0)
	v_cmp_lt_f32_e32 vcc, v2, v7
	v_cndmask_b32_e32 v7, v2, v7, vcc
                                        ; implicit-def: $vgpr2
                                        ; implicit-def: $vgpr9
                                        ; implicit-def: $vgpr6
.LBB14_987:
	s_or_saveexec_b64 s[2:3], s[2:3]
	v_mov_b32_e32 v10, 1
	s_xor_b64 exec, exec, s[2:3]
	s_cbranch_execz .LBB14_991
; %bb.988:
	v_and_b32_e32 v6, 1, v6
	v_cmp_eq_u32_e32 vcc, 1, v6
	s_and_saveexec_b64 s[8:9], vcc
	s_cbranch_execz .LBB14_990
; %bb.989:
	v_mov_b32_e32 v9, 1
	s_waitcnt lgkmcnt(0)
	v_mov_b32_e32 v7, v2
	v_mov_b32_e32 v8, v1
.LBB14_990:
	s_or_b64 exec, exec, s[8:9]
	v_mov_b32_e32 v10, v9
.LBB14_991:
	s_or_b64 exec, exec, s[2:3]
	v_and_b32_e32 v6, 0xff, v10
	s_waitcnt lgkmcnt(1)
	v_mov_b32_e32 v1, v8
	s_waitcnt lgkmcnt(0)
	v_mov_b32_e32 v2, v7
.LBB14_992:
	s_or_b64 exec, exec, s[0:1]
	v_cmp_gt_u32_e32 vcc, 60, v4
	s_waitcnt lgkmcnt(0)
	v_cndmask_b32_e64 v7, 0, 4, vcc
	v_add_lshl_u32 v7, v7, v3, 2
	ds_bpermute_b32 v9, v7, v6
	ds_bpermute_b32 v8, v7, v1
	ds_bpermute_b32 v7, v7, v2
	v_add_u32_e32 v10, 4, v4
	v_cmp_lt_u32_e32 vcc, v10, v5
	s_and_saveexec_b64 s[0:1], vcc
	s_cbranch_execz .LBB14_1000
; %bb.993:
	s_waitcnt lgkmcnt(2)
	v_and_b32_e32 v10, v6, v9
	v_and_b32_e32 v10, 1, v10
	v_cmp_eq_u32_e32 vcc, 1, v10
	s_and_saveexec_b64 s[2:3], vcc
	s_xor_b64 s[2:3], exec, s[2:3]
	s_cbranch_execz .LBB14_995
; %bb.994:
	s_waitcnt lgkmcnt(1)
	v_cmp_gt_f32_e32 vcc, v1, v8
	v_cndmask_b32_e32 v8, v1, v8, vcc
	s_waitcnt lgkmcnt(0)
	v_cmp_lt_f32_e32 vcc, v2, v7
	v_cndmask_b32_e32 v7, v2, v7, vcc
                                        ; implicit-def: $vgpr2
                                        ; implicit-def: $vgpr9
                                        ; implicit-def: $vgpr6
.LBB14_995:
	s_or_saveexec_b64 s[2:3], s[2:3]
	v_mov_b32_e32 v10, 1
	s_xor_b64 exec, exec, s[2:3]
	s_cbranch_execz .LBB14_999
; %bb.996:
	v_and_b32_e32 v6, 1, v6
	v_cmp_eq_u32_e32 vcc, 1, v6
	s_and_saveexec_b64 s[8:9], vcc
	s_cbranch_execz .LBB14_998
; %bb.997:
	v_mov_b32_e32 v9, 1
	s_waitcnt lgkmcnt(0)
	v_mov_b32_e32 v7, v2
	v_mov_b32_e32 v8, v1
.LBB14_998:
	s_or_b64 exec, exec, s[8:9]
	v_mov_b32_e32 v10, v9
.LBB14_999:
	s_or_b64 exec, exec, s[2:3]
	v_and_b32_e32 v6, 0xff, v10
	s_waitcnt lgkmcnt(1)
	v_mov_b32_e32 v1, v8
	s_waitcnt lgkmcnt(0)
	v_mov_b32_e32 v2, v7
.LBB14_1000:
	s_or_b64 exec, exec, s[0:1]
	v_cmp_gt_u32_e32 vcc, 56, v4
	s_waitcnt lgkmcnt(0)
	v_cndmask_b32_e64 v7, 0, 8, vcc
	v_add_lshl_u32 v7, v7, v3, 2
	ds_bpermute_b32 v9, v7, v6
	;; [unrolled: 56-line block ×3, first 2 shown]
	ds_bpermute_b32 v8, v7, v1
	ds_bpermute_b32 v7, v7, v2
	v_add_u32_e32 v10, 16, v4
	v_cmp_lt_u32_e32 vcc, v10, v5
	s_and_saveexec_b64 s[0:1], vcc
	s_cbranch_execz .LBB14_1016
; %bb.1009:
	s_waitcnt lgkmcnt(2)
	v_and_b32_e32 v10, v6, v9
	v_and_b32_e32 v10, 1, v10
	v_cmp_eq_u32_e32 vcc, 1, v10
	s_and_saveexec_b64 s[2:3], vcc
	s_xor_b64 s[2:3], exec, s[2:3]
	s_cbranch_execz .LBB14_1011
; %bb.1010:
	s_waitcnt lgkmcnt(1)
	v_cmp_gt_f32_e32 vcc, v1, v8
	v_cndmask_b32_e32 v8, v1, v8, vcc
	s_waitcnt lgkmcnt(0)
	v_cmp_lt_f32_e32 vcc, v2, v7
	v_cndmask_b32_e32 v7, v2, v7, vcc
                                        ; implicit-def: $vgpr2
                                        ; implicit-def: $vgpr9
                                        ; implicit-def: $vgpr6
.LBB14_1011:
	s_or_saveexec_b64 s[2:3], s[2:3]
	v_mov_b32_e32 v10, 1
	s_xor_b64 exec, exec, s[2:3]
	s_cbranch_execz .LBB14_1015
; %bb.1012:
	v_and_b32_e32 v6, 1, v6
	v_cmp_eq_u32_e32 vcc, 1, v6
	s_and_saveexec_b64 s[8:9], vcc
	s_cbranch_execz .LBB14_1014
; %bb.1013:
	v_mov_b32_e32 v9, 1
	s_waitcnt lgkmcnt(0)
	v_mov_b32_e32 v7, v2
	v_mov_b32_e32 v8, v1
.LBB14_1014:
	s_or_b64 exec, exec, s[8:9]
	v_mov_b32_e32 v10, v9
.LBB14_1015:
	s_or_b64 exec, exec, s[2:3]
	v_and_b32_e32 v6, 0xff, v10
	s_waitcnt lgkmcnt(1)
	v_mov_b32_e32 v1, v8
	s_waitcnt lgkmcnt(0)
	v_mov_b32_e32 v2, v7
.LBB14_1016:
	s_or_b64 exec, exec, s[0:1]
	s_waitcnt lgkmcnt(0)
	v_lshlrev_b32_e32 v7, 2, v3
	v_or_b32_e32 v9, 0x80, v7
	ds_bpermute_b32 v10, v9, v6
	ds_bpermute_b32 v8, v9, v1
	;; [unrolled: 1-line block ×3, first 2 shown]
	v_add_u32_e32 v4, 32, v4
	v_cmp_lt_u32_e32 vcc, v4, v5
	v_mov_b32_e32 v4, v6
	s_and_saveexec_b64 s[0:1], vcc
	s_cbranch_execz .LBB14_1024
; %bb.1017:
	s_waitcnt lgkmcnt(2)
	v_and_b32_e32 v4, v6, v10
	v_and_b32_e32 v4, 1, v4
	v_cmp_eq_u32_e32 vcc, 1, v4
	s_and_saveexec_b64 s[2:3], vcc
	s_xor_b64 s[2:3], exec, s[2:3]
	s_cbranch_execz .LBB14_1019
; %bb.1018:
	s_waitcnt lgkmcnt(1)
	v_cmp_gt_f32_e32 vcc, v1, v8
	v_cndmask_b32_e32 v8, v1, v8, vcc
	s_waitcnt lgkmcnt(0)
	v_cmp_lt_f32_e32 vcc, v2, v9
	v_cndmask_b32_e32 v9, v2, v9, vcc
                                        ; implicit-def: $vgpr2
                                        ; implicit-def: $vgpr10
                                        ; implicit-def: $vgpr6
.LBB14_1019:
	s_or_saveexec_b64 s[2:3], s[2:3]
	v_mov_b32_e32 v4, 1
	s_xor_b64 exec, exec, s[2:3]
	s_cbranch_execz .LBB14_1023
; %bb.1020:
	v_and_b32_e32 v4, 1, v6
	v_cmp_eq_u32_e32 vcc, 1, v4
	s_and_saveexec_b64 s[8:9], vcc
	s_cbranch_execz .LBB14_1022
; %bb.1021:
	v_mov_b32_e32 v10, 1
	s_waitcnt lgkmcnt(0)
	v_mov_b32_e32 v9, v2
	v_mov_b32_e32 v8, v1
.LBB14_1022:
	s_or_b64 exec, exec, s[8:9]
	v_mov_b32_e32 v4, v10
.LBB14_1023:
	s_or_b64 exec, exec, s[2:3]
	v_and_b32_e32 v6, 0xff, v4
	s_waitcnt lgkmcnt(0)
	v_mov_b32_e32 v2, v9
	v_mov_b32_e32 v1, v8
.LBB14_1024:
	s_or_b64 exec, exec, s[0:1]
	v_cmp_eq_u32_e32 vcc, 0, v3
	s_and_saveexec_b64 s[0:1], vcc
	s_cbranch_execz .LBB14_1026
; %bb.1025:
	v_lshrrev_b32_e32 v5, 6, v0
	v_mul_u32_u24_e32 v5, 12, v5
	ds_write_b8 v5, v4
	ds_write2_b32 v5, v1, v2 offset0:1 offset1:2
.LBB14_1026:
	s_or_b64 exec, exec, s[0:1]
	v_cmp_gt_u32_e32 vcc, 2, v0
	s_waitcnt lgkmcnt(0)
	s_barrier
	s_and_saveexec_b64 s[0:1], vcc
	s_cbranch_execz .LBB14_1036
; %bb.1027:
	v_mul_u32_u24_e32 v1, 12, v3
	ds_read_u8 v8, v1
	ds_read2_b32 v[1:2], v1 offset0:1 offset1:2
	v_or_b32_e32 v5, 4, v7
	s_add_i32 s10, s10, 63
	v_and_b32_e32 v3, 1, v3
	s_waitcnt lgkmcnt(1)
	v_and_b32_e32 v6, 0xff, v8
	s_waitcnt lgkmcnt(0)
	ds_bpermute_b32 v4, v5, v1
	ds_bpermute_b32 v7, v5, v6
	;; [unrolled: 1-line block ×3, first 2 shown]
	s_lshr_b32 s2, s10, 6
	v_add_u32_e32 v3, 1, v3
	v_cmp_gt_u32_e32 vcc, s2, v3
	s_and_saveexec_b64 s[2:3], vcc
	s_cbranch_execz .LBB14_1035
; %bb.1028:
	s_waitcnt lgkmcnt(1)
	v_and_b32_e32 v3, v6, v7
	v_and_b32_e32 v3, 1, v3
	v_cmp_eq_u32_e32 vcc, 1, v3
	s_and_saveexec_b64 s[8:9], vcc
	s_xor_b64 s[8:9], exec, s[8:9]
	s_cbranch_execz .LBB14_1030
; %bb.1029:
	v_cmp_gt_f32_e32 vcc, v1, v4
	v_cndmask_b32_e32 v4, v1, v4, vcc
	s_waitcnt lgkmcnt(0)
	v_cmp_lt_f32_e32 vcc, v2, v5
	v_cndmask_b32_e32 v5, v2, v5, vcc
                                        ; implicit-def: $vgpr2
                                        ; implicit-def: $vgpr7
                                        ; implicit-def: $vgpr8
.LBB14_1030:
	s_or_saveexec_b64 s[8:9], s[8:9]
	v_mov_b32_e32 v6, 1
	s_xor_b64 exec, exec, s[8:9]
	s_cbranch_execz .LBB14_1034
; %bb.1031:
	v_and_b32_e32 v3, 1, v8
	v_cmp_eq_u32_e32 vcc, 1, v3
	s_and_saveexec_b64 s[10:11], vcc
	s_cbranch_execz .LBB14_1033
; %bb.1032:
	v_mov_b32_e32 v7, 1
	s_waitcnt lgkmcnt(0)
	v_mov_b32_e32 v5, v2
	v_mov_b32_e32 v4, v1
.LBB14_1033:
	s_or_b64 exec, exec, s[10:11]
	v_mov_b32_e32 v6, v7
.LBB14_1034:
	s_or_b64 exec, exec, s[8:9]
	s_waitcnt lgkmcnt(0)
	v_mov_b32_e32 v2, v5
	v_mov_b32_e32 v1, v4
.LBB14_1035:
	s_or_b64 exec, exec, s[2:3]
.LBB14_1036:
	s_or_b64 exec, exec, s[0:1]
.LBB14_1037:
	v_cmp_eq_u32_e32 vcc, 0, v0
                                        ; implicit-def: $vgpr4
                                        ; implicit-def: $vgpr5
	s_and_saveexec_b64 s[2:3], vcc
	s_cbranch_execz .LBB14_1045
; %bb.1038:
	s_cmp_eq_u64 s[38:39], 0
	s_waitcnt lgkmcnt(2)
	v_mov_b32_e32 v4, s41
	v_mov_b32_e32 v3, s40
	s_waitcnt lgkmcnt(0)
	v_mov_b32_e32 v5, s33
	s_cbranch_scc1 .LBB14_1044
; %bb.1039:
	s_bitcmp1_b32 s33, 0
	v_and_b32_e32 v0, 1, v6
	s_cselect_b64 vcc, -1, 0
	v_cmp_eq_u32_e64 s[0:1], 1, v0
	s_and_b64 s[0:1], vcc, s[0:1]
	s_xor_b64 s[0:1], s[0:1], -1
                                        ; implicit-def: $vgpr4
                                        ; implicit-def: $vgpr5
	s_and_saveexec_b64 s[8:9], s[0:1]
	s_xor_b64 s[0:1], exec, s[8:9]
; %bb.1040:
	v_mov_b32_e32 v0, s40
	v_cndmask_b32_e32 v3, v1, v0, vcc
	v_mov_b32_e32 v0, s41
	v_cndmask_b32_e64 v5, v6, 1, vcc
	v_cndmask_b32_e32 v4, v2, v0, vcc
                                        ; implicit-def: $vgpr1
; %bb.1041:
	s_andn2_saveexec_b64 s[0:1], s[0:1]
; %bb.1042:
	v_mov_b32_e32 v0, s40
	v_cmp_gt_f32_e32 vcc, s40, v1
	v_cndmask_b32_e32 v3, v0, v1, vcc
	v_mov_b32_e32 v0, s41
	v_cmp_lt_f32_e32 vcc, s41, v2
	v_cndmask_b32_e32 v4, v0, v2, vcc
	v_mov_b32_e32 v5, 1
; %bb.1043:
	s_or_b64 exec, exec, s[0:1]
.LBB14_1044:
	s_or_b64 s[18:19], s[18:19], exec
.LBB14_1045:
	s_or_b64 exec, exec, s[2:3]
	s_and_saveexec_b64 s[0:1], s[18:19]
	s_cbranch_execnz .LBB14_971
	s_branch .LBB14_972
	.section	.rodata,"a",@progbits
	.p2align	6, 0x0
	.amdhsa_kernel _ZN7rocprim17ROCPRIM_400000_NS6detail17trampoline_kernelINS0_14default_configENS1_22reduce_config_selectorIN6thrust23THRUST_200600_302600_NS5tupleIbffNS6_9null_typeES8_S8_S8_S8_S8_S8_EEEEZNS1_11reduce_implILb1ES3_PS9_SC_S9_12reduce_tupleIifEEE10hipError_tPvRmT1_T2_T3_mT4_P12ihipStream_tbEUlT_E1_NS1_11comp_targetILNS1_3genE2ELNS1_11target_archE906ELNS1_3gpuE6ELNS1_3repE0EEENS1_30default_config_static_selectorELNS0_4arch9wavefront6targetE1EEEvSI_
		.amdhsa_group_segment_fixed_size 184
		.amdhsa_private_segment_fixed_size 0
		.amdhsa_kernarg_size 48
		.amdhsa_user_sgpr_count 6
		.amdhsa_user_sgpr_private_segment_buffer 1
		.amdhsa_user_sgpr_dispatch_ptr 0
		.amdhsa_user_sgpr_queue_ptr 0
		.amdhsa_user_sgpr_kernarg_segment_ptr 1
		.amdhsa_user_sgpr_dispatch_id 0
		.amdhsa_user_sgpr_flat_scratch_init 0
		.amdhsa_user_sgpr_private_segment_size 0
		.amdhsa_uses_dynamic_stack 0
		.amdhsa_system_sgpr_private_segment_wavefront_offset 0
		.amdhsa_system_sgpr_workgroup_id_x 1
		.amdhsa_system_sgpr_workgroup_id_y 0
		.amdhsa_system_sgpr_workgroup_id_z 0
		.amdhsa_system_sgpr_workgroup_info 0
		.amdhsa_system_vgpr_workitem_id 0
		.amdhsa_next_free_vgpr 51
		.amdhsa_next_free_sgpr 50
		.amdhsa_reserve_vcc 1
		.amdhsa_reserve_flat_scratch 0
		.amdhsa_float_round_mode_32 0
		.amdhsa_float_round_mode_16_64 0
		.amdhsa_float_denorm_mode_32 3
		.amdhsa_float_denorm_mode_16_64 3
		.amdhsa_dx10_clamp 1
		.amdhsa_ieee_mode 1
		.amdhsa_fp16_overflow 0
		.amdhsa_exception_fp_ieee_invalid_op 0
		.amdhsa_exception_fp_denorm_src 0
		.amdhsa_exception_fp_ieee_div_zero 0
		.amdhsa_exception_fp_ieee_overflow 0
		.amdhsa_exception_fp_ieee_underflow 0
		.amdhsa_exception_fp_ieee_inexact 0
		.amdhsa_exception_int_div_zero 0
	.end_amdhsa_kernel
	.section	.text._ZN7rocprim17ROCPRIM_400000_NS6detail17trampoline_kernelINS0_14default_configENS1_22reduce_config_selectorIN6thrust23THRUST_200600_302600_NS5tupleIbffNS6_9null_typeES8_S8_S8_S8_S8_S8_EEEEZNS1_11reduce_implILb1ES3_PS9_SC_S9_12reduce_tupleIifEEE10hipError_tPvRmT1_T2_T3_mT4_P12ihipStream_tbEUlT_E1_NS1_11comp_targetILNS1_3genE2ELNS1_11target_archE906ELNS1_3gpuE6ELNS1_3repE0EEENS1_30default_config_static_selectorELNS0_4arch9wavefront6targetE1EEEvSI_,"axG",@progbits,_ZN7rocprim17ROCPRIM_400000_NS6detail17trampoline_kernelINS0_14default_configENS1_22reduce_config_selectorIN6thrust23THRUST_200600_302600_NS5tupleIbffNS6_9null_typeES8_S8_S8_S8_S8_S8_EEEEZNS1_11reduce_implILb1ES3_PS9_SC_S9_12reduce_tupleIifEEE10hipError_tPvRmT1_T2_T3_mT4_P12ihipStream_tbEUlT_E1_NS1_11comp_targetILNS1_3genE2ELNS1_11target_archE906ELNS1_3gpuE6ELNS1_3repE0EEENS1_30default_config_static_selectorELNS0_4arch9wavefront6targetE1EEEvSI_,comdat
.Lfunc_end14:
	.size	_ZN7rocprim17ROCPRIM_400000_NS6detail17trampoline_kernelINS0_14default_configENS1_22reduce_config_selectorIN6thrust23THRUST_200600_302600_NS5tupleIbffNS6_9null_typeES8_S8_S8_S8_S8_S8_EEEEZNS1_11reduce_implILb1ES3_PS9_SC_S9_12reduce_tupleIifEEE10hipError_tPvRmT1_T2_T3_mT4_P12ihipStream_tbEUlT_E1_NS1_11comp_targetILNS1_3genE2ELNS1_11target_archE906ELNS1_3gpuE6ELNS1_3repE0EEENS1_30default_config_static_selectorELNS0_4arch9wavefront6targetE1EEEvSI_, .Lfunc_end14-_ZN7rocprim17ROCPRIM_400000_NS6detail17trampoline_kernelINS0_14default_configENS1_22reduce_config_selectorIN6thrust23THRUST_200600_302600_NS5tupleIbffNS6_9null_typeES8_S8_S8_S8_S8_S8_EEEEZNS1_11reduce_implILb1ES3_PS9_SC_S9_12reduce_tupleIifEEE10hipError_tPvRmT1_T2_T3_mT4_P12ihipStream_tbEUlT_E1_NS1_11comp_targetILNS1_3genE2ELNS1_11target_archE906ELNS1_3gpuE6ELNS1_3repE0EEENS1_30default_config_static_selectorELNS0_4arch9wavefront6targetE1EEEvSI_
                                        ; -- End function
	.set _ZN7rocprim17ROCPRIM_400000_NS6detail17trampoline_kernelINS0_14default_configENS1_22reduce_config_selectorIN6thrust23THRUST_200600_302600_NS5tupleIbffNS6_9null_typeES8_S8_S8_S8_S8_S8_EEEEZNS1_11reduce_implILb1ES3_PS9_SC_S9_12reduce_tupleIifEEE10hipError_tPvRmT1_T2_T3_mT4_P12ihipStream_tbEUlT_E1_NS1_11comp_targetILNS1_3genE2ELNS1_11target_archE906ELNS1_3gpuE6ELNS1_3repE0EEENS1_30default_config_static_selectorELNS0_4arch9wavefront6targetE1EEEvSI_.num_vgpr, 51
	.set _ZN7rocprim17ROCPRIM_400000_NS6detail17trampoline_kernelINS0_14default_configENS1_22reduce_config_selectorIN6thrust23THRUST_200600_302600_NS5tupleIbffNS6_9null_typeES8_S8_S8_S8_S8_S8_EEEEZNS1_11reduce_implILb1ES3_PS9_SC_S9_12reduce_tupleIifEEE10hipError_tPvRmT1_T2_T3_mT4_P12ihipStream_tbEUlT_E1_NS1_11comp_targetILNS1_3genE2ELNS1_11target_archE906ELNS1_3gpuE6ELNS1_3repE0EEENS1_30default_config_static_selectorELNS0_4arch9wavefront6targetE1EEEvSI_.num_agpr, 0
	.set _ZN7rocprim17ROCPRIM_400000_NS6detail17trampoline_kernelINS0_14default_configENS1_22reduce_config_selectorIN6thrust23THRUST_200600_302600_NS5tupleIbffNS6_9null_typeES8_S8_S8_S8_S8_S8_EEEEZNS1_11reduce_implILb1ES3_PS9_SC_S9_12reduce_tupleIifEEE10hipError_tPvRmT1_T2_T3_mT4_P12ihipStream_tbEUlT_E1_NS1_11comp_targetILNS1_3genE2ELNS1_11target_archE906ELNS1_3gpuE6ELNS1_3repE0EEENS1_30default_config_static_selectorELNS0_4arch9wavefront6targetE1EEEvSI_.numbered_sgpr, 50
	.set _ZN7rocprim17ROCPRIM_400000_NS6detail17trampoline_kernelINS0_14default_configENS1_22reduce_config_selectorIN6thrust23THRUST_200600_302600_NS5tupleIbffNS6_9null_typeES8_S8_S8_S8_S8_S8_EEEEZNS1_11reduce_implILb1ES3_PS9_SC_S9_12reduce_tupleIifEEE10hipError_tPvRmT1_T2_T3_mT4_P12ihipStream_tbEUlT_E1_NS1_11comp_targetILNS1_3genE2ELNS1_11target_archE906ELNS1_3gpuE6ELNS1_3repE0EEENS1_30default_config_static_selectorELNS0_4arch9wavefront6targetE1EEEvSI_.num_named_barrier, 0
	.set _ZN7rocprim17ROCPRIM_400000_NS6detail17trampoline_kernelINS0_14default_configENS1_22reduce_config_selectorIN6thrust23THRUST_200600_302600_NS5tupleIbffNS6_9null_typeES8_S8_S8_S8_S8_S8_EEEEZNS1_11reduce_implILb1ES3_PS9_SC_S9_12reduce_tupleIifEEE10hipError_tPvRmT1_T2_T3_mT4_P12ihipStream_tbEUlT_E1_NS1_11comp_targetILNS1_3genE2ELNS1_11target_archE906ELNS1_3gpuE6ELNS1_3repE0EEENS1_30default_config_static_selectorELNS0_4arch9wavefront6targetE1EEEvSI_.private_seg_size, 0
	.set _ZN7rocprim17ROCPRIM_400000_NS6detail17trampoline_kernelINS0_14default_configENS1_22reduce_config_selectorIN6thrust23THRUST_200600_302600_NS5tupleIbffNS6_9null_typeES8_S8_S8_S8_S8_S8_EEEEZNS1_11reduce_implILb1ES3_PS9_SC_S9_12reduce_tupleIifEEE10hipError_tPvRmT1_T2_T3_mT4_P12ihipStream_tbEUlT_E1_NS1_11comp_targetILNS1_3genE2ELNS1_11target_archE906ELNS1_3gpuE6ELNS1_3repE0EEENS1_30default_config_static_selectorELNS0_4arch9wavefront6targetE1EEEvSI_.uses_vcc, 1
	.set _ZN7rocprim17ROCPRIM_400000_NS6detail17trampoline_kernelINS0_14default_configENS1_22reduce_config_selectorIN6thrust23THRUST_200600_302600_NS5tupleIbffNS6_9null_typeES8_S8_S8_S8_S8_S8_EEEEZNS1_11reduce_implILb1ES3_PS9_SC_S9_12reduce_tupleIifEEE10hipError_tPvRmT1_T2_T3_mT4_P12ihipStream_tbEUlT_E1_NS1_11comp_targetILNS1_3genE2ELNS1_11target_archE906ELNS1_3gpuE6ELNS1_3repE0EEENS1_30default_config_static_selectorELNS0_4arch9wavefront6targetE1EEEvSI_.uses_flat_scratch, 0
	.set _ZN7rocprim17ROCPRIM_400000_NS6detail17trampoline_kernelINS0_14default_configENS1_22reduce_config_selectorIN6thrust23THRUST_200600_302600_NS5tupleIbffNS6_9null_typeES8_S8_S8_S8_S8_S8_EEEEZNS1_11reduce_implILb1ES3_PS9_SC_S9_12reduce_tupleIifEEE10hipError_tPvRmT1_T2_T3_mT4_P12ihipStream_tbEUlT_E1_NS1_11comp_targetILNS1_3genE2ELNS1_11target_archE906ELNS1_3gpuE6ELNS1_3repE0EEENS1_30default_config_static_selectorELNS0_4arch9wavefront6targetE1EEEvSI_.has_dyn_sized_stack, 0
	.set _ZN7rocprim17ROCPRIM_400000_NS6detail17trampoline_kernelINS0_14default_configENS1_22reduce_config_selectorIN6thrust23THRUST_200600_302600_NS5tupleIbffNS6_9null_typeES8_S8_S8_S8_S8_S8_EEEEZNS1_11reduce_implILb1ES3_PS9_SC_S9_12reduce_tupleIifEEE10hipError_tPvRmT1_T2_T3_mT4_P12ihipStream_tbEUlT_E1_NS1_11comp_targetILNS1_3genE2ELNS1_11target_archE906ELNS1_3gpuE6ELNS1_3repE0EEENS1_30default_config_static_selectorELNS0_4arch9wavefront6targetE1EEEvSI_.has_recursion, 0
	.set _ZN7rocprim17ROCPRIM_400000_NS6detail17trampoline_kernelINS0_14default_configENS1_22reduce_config_selectorIN6thrust23THRUST_200600_302600_NS5tupleIbffNS6_9null_typeES8_S8_S8_S8_S8_S8_EEEEZNS1_11reduce_implILb1ES3_PS9_SC_S9_12reduce_tupleIifEEE10hipError_tPvRmT1_T2_T3_mT4_P12ihipStream_tbEUlT_E1_NS1_11comp_targetILNS1_3genE2ELNS1_11target_archE906ELNS1_3gpuE6ELNS1_3repE0EEENS1_30default_config_static_selectorELNS0_4arch9wavefront6targetE1EEEvSI_.has_indirect_call, 0
	.section	.AMDGPU.csdata,"",@progbits
; Kernel info:
; codeLenInByte = 23272
; TotalNumSgprs: 54
; NumVgprs: 51
; ScratchSize: 0
; MemoryBound: 0
; FloatMode: 240
; IeeeMode: 1
; LDSByteSize: 184 bytes/workgroup (compile time only)
; SGPRBlocks: 6
; VGPRBlocks: 12
; NumSGPRsForWavesPerEU: 54
; NumVGPRsForWavesPerEU: 51
; Occupancy: 4
; WaveLimiterHint : 1
; COMPUTE_PGM_RSRC2:SCRATCH_EN: 0
; COMPUTE_PGM_RSRC2:USER_SGPR: 6
; COMPUTE_PGM_RSRC2:TRAP_HANDLER: 0
; COMPUTE_PGM_RSRC2:TGID_X_EN: 1
; COMPUTE_PGM_RSRC2:TGID_Y_EN: 0
; COMPUTE_PGM_RSRC2:TGID_Z_EN: 0
; COMPUTE_PGM_RSRC2:TIDIG_COMP_CNT: 0
	.section	.text._ZN7rocprim17ROCPRIM_400000_NS6detail17trampoline_kernelINS0_14default_configENS1_22reduce_config_selectorIN6thrust23THRUST_200600_302600_NS5tupleIbffNS6_9null_typeES8_S8_S8_S8_S8_S8_EEEEZNS1_11reduce_implILb1ES3_PS9_SC_S9_12reduce_tupleIifEEE10hipError_tPvRmT1_T2_T3_mT4_P12ihipStream_tbEUlT_E1_NS1_11comp_targetILNS1_3genE10ELNS1_11target_archE1201ELNS1_3gpuE5ELNS1_3repE0EEENS1_30default_config_static_selectorELNS0_4arch9wavefront6targetE1EEEvSI_,"axG",@progbits,_ZN7rocprim17ROCPRIM_400000_NS6detail17trampoline_kernelINS0_14default_configENS1_22reduce_config_selectorIN6thrust23THRUST_200600_302600_NS5tupleIbffNS6_9null_typeES8_S8_S8_S8_S8_S8_EEEEZNS1_11reduce_implILb1ES3_PS9_SC_S9_12reduce_tupleIifEEE10hipError_tPvRmT1_T2_T3_mT4_P12ihipStream_tbEUlT_E1_NS1_11comp_targetILNS1_3genE10ELNS1_11target_archE1201ELNS1_3gpuE5ELNS1_3repE0EEENS1_30default_config_static_selectorELNS0_4arch9wavefront6targetE1EEEvSI_,comdat
	.protected	_ZN7rocprim17ROCPRIM_400000_NS6detail17trampoline_kernelINS0_14default_configENS1_22reduce_config_selectorIN6thrust23THRUST_200600_302600_NS5tupleIbffNS6_9null_typeES8_S8_S8_S8_S8_S8_EEEEZNS1_11reduce_implILb1ES3_PS9_SC_S9_12reduce_tupleIifEEE10hipError_tPvRmT1_T2_T3_mT4_P12ihipStream_tbEUlT_E1_NS1_11comp_targetILNS1_3genE10ELNS1_11target_archE1201ELNS1_3gpuE5ELNS1_3repE0EEENS1_30default_config_static_selectorELNS0_4arch9wavefront6targetE1EEEvSI_ ; -- Begin function _ZN7rocprim17ROCPRIM_400000_NS6detail17trampoline_kernelINS0_14default_configENS1_22reduce_config_selectorIN6thrust23THRUST_200600_302600_NS5tupleIbffNS6_9null_typeES8_S8_S8_S8_S8_S8_EEEEZNS1_11reduce_implILb1ES3_PS9_SC_S9_12reduce_tupleIifEEE10hipError_tPvRmT1_T2_T3_mT4_P12ihipStream_tbEUlT_E1_NS1_11comp_targetILNS1_3genE10ELNS1_11target_archE1201ELNS1_3gpuE5ELNS1_3repE0EEENS1_30default_config_static_selectorELNS0_4arch9wavefront6targetE1EEEvSI_
	.globl	_ZN7rocprim17ROCPRIM_400000_NS6detail17trampoline_kernelINS0_14default_configENS1_22reduce_config_selectorIN6thrust23THRUST_200600_302600_NS5tupleIbffNS6_9null_typeES8_S8_S8_S8_S8_S8_EEEEZNS1_11reduce_implILb1ES3_PS9_SC_S9_12reduce_tupleIifEEE10hipError_tPvRmT1_T2_T3_mT4_P12ihipStream_tbEUlT_E1_NS1_11comp_targetILNS1_3genE10ELNS1_11target_archE1201ELNS1_3gpuE5ELNS1_3repE0EEENS1_30default_config_static_selectorELNS0_4arch9wavefront6targetE1EEEvSI_
	.p2align	8
	.type	_ZN7rocprim17ROCPRIM_400000_NS6detail17trampoline_kernelINS0_14default_configENS1_22reduce_config_selectorIN6thrust23THRUST_200600_302600_NS5tupleIbffNS6_9null_typeES8_S8_S8_S8_S8_S8_EEEEZNS1_11reduce_implILb1ES3_PS9_SC_S9_12reduce_tupleIifEEE10hipError_tPvRmT1_T2_T3_mT4_P12ihipStream_tbEUlT_E1_NS1_11comp_targetILNS1_3genE10ELNS1_11target_archE1201ELNS1_3gpuE5ELNS1_3repE0EEENS1_30default_config_static_selectorELNS0_4arch9wavefront6targetE1EEEvSI_,@function
_ZN7rocprim17ROCPRIM_400000_NS6detail17trampoline_kernelINS0_14default_configENS1_22reduce_config_selectorIN6thrust23THRUST_200600_302600_NS5tupleIbffNS6_9null_typeES8_S8_S8_S8_S8_S8_EEEEZNS1_11reduce_implILb1ES3_PS9_SC_S9_12reduce_tupleIifEEE10hipError_tPvRmT1_T2_T3_mT4_P12ihipStream_tbEUlT_E1_NS1_11comp_targetILNS1_3genE10ELNS1_11target_archE1201ELNS1_3gpuE5ELNS1_3repE0EEENS1_30default_config_static_selectorELNS0_4arch9wavefront6targetE1EEEvSI_: ; @_ZN7rocprim17ROCPRIM_400000_NS6detail17trampoline_kernelINS0_14default_configENS1_22reduce_config_selectorIN6thrust23THRUST_200600_302600_NS5tupleIbffNS6_9null_typeES8_S8_S8_S8_S8_S8_EEEEZNS1_11reduce_implILb1ES3_PS9_SC_S9_12reduce_tupleIifEEE10hipError_tPvRmT1_T2_T3_mT4_P12ihipStream_tbEUlT_E1_NS1_11comp_targetILNS1_3genE10ELNS1_11target_archE1201ELNS1_3gpuE5ELNS1_3repE0EEENS1_30default_config_static_selectorELNS0_4arch9wavefront6targetE1EEEvSI_
; %bb.0:
	.section	.rodata,"a",@progbits
	.p2align	6, 0x0
	.amdhsa_kernel _ZN7rocprim17ROCPRIM_400000_NS6detail17trampoline_kernelINS0_14default_configENS1_22reduce_config_selectorIN6thrust23THRUST_200600_302600_NS5tupleIbffNS6_9null_typeES8_S8_S8_S8_S8_S8_EEEEZNS1_11reduce_implILb1ES3_PS9_SC_S9_12reduce_tupleIifEEE10hipError_tPvRmT1_T2_T3_mT4_P12ihipStream_tbEUlT_E1_NS1_11comp_targetILNS1_3genE10ELNS1_11target_archE1201ELNS1_3gpuE5ELNS1_3repE0EEENS1_30default_config_static_selectorELNS0_4arch9wavefront6targetE1EEEvSI_
		.amdhsa_group_segment_fixed_size 0
		.amdhsa_private_segment_fixed_size 0
		.amdhsa_kernarg_size 48
		.amdhsa_user_sgpr_count 6
		.amdhsa_user_sgpr_private_segment_buffer 1
		.amdhsa_user_sgpr_dispatch_ptr 0
		.amdhsa_user_sgpr_queue_ptr 0
		.amdhsa_user_sgpr_kernarg_segment_ptr 1
		.amdhsa_user_sgpr_dispatch_id 0
		.amdhsa_user_sgpr_flat_scratch_init 0
		.amdhsa_user_sgpr_private_segment_size 0
		.amdhsa_uses_dynamic_stack 0
		.amdhsa_system_sgpr_private_segment_wavefront_offset 0
		.amdhsa_system_sgpr_workgroup_id_x 1
		.amdhsa_system_sgpr_workgroup_id_y 0
		.amdhsa_system_sgpr_workgroup_id_z 0
		.amdhsa_system_sgpr_workgroup_info 0
		.amdhsa_system_vgpr_workitem_id 0
		.amdhsa_next_free_vgpr 1
		.amdhsa_next_free_sgpr 0
		.amdhsa_reserve_vcc 0
		.amdhsa_reserve_flat_scratch 0
		.amdhsa_float_round_mode_32 0
		.amdhsa_float_round_mode_16_64 0
		.amdhsa_float_denorm_mode_32 3
		.amdhsa_float_denorm_mode_16_64 3
		.amdhsa_dx10_clamp 1
		.amdhsa_ieee_mode 1
		.amdhsa_fp16_overflow 0
		.amdhsa_exception_fp_ieee_invalid_op 0
		.amdhsa_exception_fp_denorm_src 0
		.amdhsa_exception_fp_ieee_div_zero 0
		.amdhsa_exception_fp_ieee_overflow 0
		.amdhsa_exception_fp_ieee_underflow 0
		.amdhsa_exception_fp_ieee_inexact 0
		.amdhsa_exception_int_div_zero 0
	.end_amdhsa_kernel
	.section	.text._ZN7rocprim17ROCPRIM_400000_NS6detail17trampoline_kernelINS0_14default_configENS1_22reduce_config_selectorIN6thrust23THRUST_200600_302600_NS5tupleIbffNS6_9null_typeES8_S8_S8_S8_S8_S8_EEEEZNS1_11reduce_implILb1ES3_PS9_SC_S9_12reduce_tupleIifEEE10hipError_tPvRmT1_T2_T3_mT4_P12ihipStream_tbEUlT_E1_NS1_11comp_targetILNS1_3genE10ELNS1_11target_archE1201ELNS1_3gpuE5ELNS1_3repE0EEENS1_30default_config_static_selectorELNS0_4arch9wavefront6targetE1EEEvSI_,"axG",@progbits,_ZN7rocprim17ROCPRIM_400000_NS6detail17trampoline_kernelINS0_14default_configENS1_22reduce_config_selectorIN6thrust23THRUST_200600_302600_NS5tupleIbffNS6_9null_typeES8_S8_S8_S8_S8_S8_EEEEZNS1_11reduce_implILb1ES3_PS9_SC_S9_12reduce_tupleIifEEE10hipError_tPvRmT1_T2_T3_mT4_P12ihipStream_tbEUlT_E1_NS1_11comp_targetILNS1_3genE10ELNS1_11target_archE1201ELNS1_3gpuE5ELNS1_3repE0EEENS1_30default_config_static_selectorELNS0_4arch9wavefront6targetE1EEEvSI_,comdat
.Lfunc_end15:
	.size	_ZN7rocprim17ROCPRIM_400000_NS6detail17trampoline_kernelINS0_14default_configENS1_22reduce_config_selectorIN6thrust23THRUST_200600_302600_NS5tupleIbffNS6_9null_typeES8_S8_S8_S8_S8_S8_EEEEZNS1_11reduce_implILb1ES3_PS9_SC_S9_12reduce_tupleIifEEE10hipError_tPvRmT1_T2_T3_mT4_P12ihipStream_tbEUlT_E1_NS1_11comp_targetILNS1_3genE10ELNS1_11target_archE1201ELNS1_3gpuE5ELNS1_3repE0EEENS1_30default_config_static_selectorELNS0_4arch9wavefront6targetE1EEEvSI_, .Lfunc_end15-_ZN7rocprim17ROCPRIM_400000_NS6detail17trampoline_kernelINS0_14default_configENS1_22reduce_config_selectorIN6thrust23THRUST_200600_302600_NS5tupleIbffNS6_9null_typeES8_S8_S8_S8_S8_S8_EEEEZNS1_11reduce_implILb1ES3_PS9_SC_S9_12reduce_tupleIifEEE10hipError_tPvRmT1_T2_T3_mT4_P12ihipStream_tbEUlT_E1_NS1_11comp_targetILNS1_3genE10ELNS1_11target_archE1201ELNS1_3gpuE5ELNS1_3repE0EEENS1_30default_config_static_selectorELNS0_4arch9wavefront6targetE1EEEvSI_
                                        ; -- End function
	.set _ZN7rocprim17ROCPRIM_400000_NS6detail17trampoline_kernelINS0_14default_configENS1_22reduce_config_selectorIN6thrust23THRUST_200600_302600_NS5tupleIbffNS6_9null_typeES8_S8_S8_S8_S8_S8_EEEEZNS1_11reduce_implILb1ES3_PS9_SC_S9_12reduce_tupleIifEEE10hipError_tPvRmT1_T2_T3_mT4_P12ihipStream_tbEUlT_E1_NS1_11comp_targetILNS1_3genE10ELNS1_11target_archE1201ELNS1_3gpuE5ELNS1_3repE0EEENS1_30default_config_static_selectorELNS0_4arch9wavefront6targetE1EEEvSI_.num_vgpr, 0
	.set _ZN7rocprim17ROCPRIM_400000_NS6detail17trampoline_kernelINS0_14default_configENS1_22reduce_config_selectorIN6thrust23THRUST_200600_302600_NS5tupleIbffNS6_9null_typeES8_S8_S8_S8_S8_S8_EEEEZNS1_11reduce_implILb1ES3_PS9_SC_S9_12reduce_tupleIifEEE10hipError_tPvRmT1_T2_T3_mT4_P12ihipStream_tbEUlT_E1_NS1_11comp_targetILNS1_3genE10ELNS1_11target_archE1201ELNS1_3gpuE5ELNS1_3repE0EEENS1_30default_config_static_selectorELNS0_4arch9wavefront6targetE1EEEvSI_.num_agpr, 0
	.set _ZN7rocprim17ROCPRIM_400000_NS6detail17trampoline_kernelINS0_14default_configENS1_22reduce_config_selectorIN6thrust23THRUST_200600_302600_NS5tupleIbffNS6_9null_typeES8_S8_S8_S8_S8_S8_EEEEZNS1_11reduce_implILb1ES3_PS9_SC_S9_12reduce_tupleIifEEE10hipError_tPvRmT1_T2_T3_mT4_P12ihipStream_tbEUlT_E1_NS1_11comp_targetILNS1_3genE10ELNS1_11target_archE1201ELNS1_3gpuE5ELNS1_3repE0EEENS1_30default_config_static_selectorELNS0_4arch9wavefront6targetE1EEEvSI_.numbered_sgpr, 0
	.set _ZN7rocprim17ROCPRIM_400000_NS6detail17trampoline_kernelINS0_14default_configENS1_22reduce_config_selectorIN6thrust23THRUST_200600_302600_NS5tupleIbffNS6_9null_typeES8_S8_S8_S8_S8_S8_EEEEZNS1_11reduce_implILb1ES3_PS9_SC_S9_12reduce_tupleIifEEE10hipError_tPvRmT1_T2_T3_mT4_P12ihipStream_tbEUlT_E1_NS1_11comp_targetILNS1_3genE10ELNS1_11target_archE1201ELNS1_3gpuE5ELNS1_3repE0EEENS1_30default_config_static_selectorELNS0_4arch9wavefront6targetE1EEEvSI_.num_named_barrier, 0
	.set _ZN7rocprim17ROCPRIM_400000_NS6detail17trampoline_kernelINS0_14default_configENS1_22reduce_config_selectorIN6thrust23THRUST_200600_302600_NS5tupleIbffNS6_9null_typeES8_S8_S8_S8_S8_S8_EEEEZNS1_11reduce_implILb1ES3_PS9_SC_S9_12reduce_tupleIifEEE10hipError_tPvRmT1_T2_T3_mT4_P12ihipStream_tbEUlT_E1_NS1_11comp_targetILNS1_3genE10ELNS1_11target_archE1201ELNS1_3gpuE5ELNS1_3repE0EEENS1_30default_config_static_selectorELNS0_4arch9wavefront6targetE1EEEvSI_.private_seg_size, 0
	.set _ZN7rocprim17ROCPRIM_400000_NS6detail17trampoline_kernelINS0_14default_configENS1_22reduce_config_selectorIN6thrust23THRUST_200600_302600_NS5tupleIbffNS6_9null_typeES8_S8_S8_S8_S8_S8_EEEEZNS1_11reduce_implILb1ES3_PS9_SC_S9_12reduce_tupleIifEEE10hipError_tPvRmT1_T2_T3_mT4_P12ihipStream_tbEUlT_E1_NS1_11comp_targetILNS1_3genE10ELNS1_11target_archE1201ELNS1_3gpuE5ELNS1_3repE0EEENS1_30default_config_static_selectorELNS0_4arch9wavefront6targetE1EEEvSI_.uses_vcc, 0
	.set _ZN7rocprim17ROCPRIM_400000_NS6detail17trampoline_kernelINS0_14default_configENS1_22reduce_config_selectorIN6thrust23THRUST_200600_302600_NS5tupleIbffNS6_9null_typeES8_S8_S8_S8_S8_S8_EEEEZNS1_11reduce_implILb1ES3_PS9_SC_S9_12reduce_tupleIifEEE10hipError_tPvRmT1_T2_T3_mT4_P12ihipStream_tbEUlT_E1_NS1_11comp_targetILNS1_3genE10ELNS1_11target_archE1201ELNS1_3gpuE5ELNS1_3repE0EEENS1_30default_config_static_selectorELNS0_4arch9wavefront6targetE1EEEvSI_.uses_flat_scratch, 0
	.set _ZN7rocprim17ROCPRIM_400000_NS6detail17trampoline_kernelINS0_14default_configENS1_22reduce_config_selectorIN6thrust23THRUST_200600_302600_NS5tupleIbffNS6_9null_typeES8_S8_S8_S8_S8_S8_EEEEZNS1_11reduce_implILb1ES3_PS9_SC_S9_12reduce_tupleIifEEE10hipError_tPvRmT1_T2_T3_mT4_P12ihipStream_tbEUlT_E1_NS1_11comp_targetILNS1_3genE10ELNS1_11target_archE1201ELNS1_3gpuE5ELNS1_3repE0EEENS1_30default_config_static_selectorELNS0_4arch9wavefront6targetE1EEEvSI_.has_dyn_sized_stack, 0
	.set _ZN7rocprim17ROCPRIM_400000_NS6detail17trampoline_kernelINS0_14default_configENS1_22reduce_config_selectorIN6thrust23THRUST_200600_302600_NS5tupleIbffNS6_9null_typeES8_S8_S8_S8_S8_S8_EEEEZNS1_11reduce_implILb1ES3_PS9_SC_S9_12reduce_tupleIifEEE10hipError_tPvRmT1_T2_T3_mT4_P12ihipStream_tbEUlT_E1_NS1_11comp_targetILNS1_3genE10ELNS1_11target_archE1201ELNS1_3gpuE5ELNS1_3repE0EEENS1_30default_config_static_selectorELNS0_4arch9wavefront6targetE1EEEvSI_.has_recursion, 0
	.set _ZN7rocprim17ROCPRIM_400000_NS6detail17trampoline_kernelINS0_14default_configENS1_22reduce_config_selectorIN6thrust23THRUST_200600_302600_NS5tupleIbffNS6_9null_typeES8_S8_S8_S8_S8_S8_EEEEZNS1_11reduce_implILb1ES3_PS9_SC_S9_12reduce_tupleIifEEE10hipError_tPvRmT1_T2_T3_mT4_P12ihipStream_tbEUlT_E1_NS1_11comp_targetILNS1_3genE10ELNS1_11target_archE1201ELNS1_3gpuE5ELNS1_3repE0EEENS1_30default_config_static_selectorELNS0_4arch9wavefront6targetE1EEEvSI_.has_indirect_call, 0
	.section	.AMDGPU.csdata,"",@progbits
; Kernel info:
; codeLenInByte = 0
; TotalNumSgprs: 4
; NumVgprs: 0
; ScratchSize: 0
; MemoryBound: 0
; FloatMode: 240
; IeeeMode: 1
; LDSByteSize: 0 bytes/workgroup (compile time only)
; SGPRBlocks: 0
; VGPRBlocks: 0
; NumSGPRsForWavesPerEU: 4
; NumVGPRsForWavesPerEU: 1
; Occupancy: 10
; WaveLimiterHint : 0
; COMPUTE_PGM_RSRC2:SCRATCH_EN: 0
; COMPUTE_PGM_RSRC2:USER_SGPR: 6
; COMPUTE_PGM_RSRC2:TRAP_HANDLER: 0
; COMPUTE_PGM_RSRC2:TGID_X_EN: 1
; COMPUTE_PGM_RSRC2:TGID_Y_EN: 0
; COMPUTE_PGM_RSRC2:TGID_Z_EN: 0
; COMPUTE_PGM_RSRC2:TIDIG_COMP_CNT: 0
	.section	.text._ZN7rocprim17ROCPRIM_400000_NS6detail17trampoline_kernelINS0_14default_configENS1_22reduce_config_selectorIN6thrust23THRUST_200600_302600_NS5tupleIbffNS6_9null_typeES8_S8_S8_S8_S8_S8_EEEEZNS1_11reduce_implILb1ES3_PS9_SC_S9_12reduce_tupleIifEEE10hipError_tPvRmT1_T2_T3_mT4_P12ihipStream_tbEUlT_E1_NS1_11comp_targetILNS1_3genE10ELNS1_11target_archE1200ELNS1_3gpuE4ELNS1_3repE0EEENS1_30default_config_static_selectorELNS0_4arch9wavefront6targetE1EEEvSI_,"axG",@progbits,_ZN7rocprim17ROCPRIM_400000_NS6detail17trampoline_kernelINS0_14default_configENS1_22reduce_config_selectorIN6thrust23THRUST_200600_302600_NS5tupleIbffNS6_9null_typeES8_S8_S8_S8_S8_S8_EEEEZNS1_11reduce_implILb1ES3_PS9_SC_S9_12reduce_tupleIifEEE10hipError_tPvRmT1_T2_T3_mT4_P12ihipStream_tbEUlT_E1_NS1_11comp_targetILNS1_3genE10ELNS1_11target_archE1200ELNS1_3gpuE4ELNS1_3repE0EEENS1_30default_config_static_selectorELNS0_4arch9wavefront6targetE1EEEvSI_,comdat
	.protected	_ZN7rocprim17ROCPRIM_400000_NS6detail17trampoline_kernelINS0_14default_configENS1_22reduce_config_selectorIN6thrust23THRUST_200600_302600_NS5tupleIbffNS6_9null_typeES8_S8_S8_S8_S8_S8_EEEEZNS1_11reduce_implILb1ES3_PS9_SC_S9_12reduce_tupleIifEEE10hipError_tPvRmT1_T2_T3_mT4_P12ihipStream_tbEUlT_E1_NS1_11comp_targetILNS1_3genE10ELNS1_11target_archE1200ELNS1_3gpuE4ELNS1_3repE0EEENS1_30default_config_static_selectorELNS0_4arch9wavefront6targetE1EEEvSI_ ; -- Begin function _ZN7rocprim17ROCPRIM_400000_NS6detail17trampoline_kernelINS0_14default_configENS1_22reduce_config_selectorIN6thrust23THRUST_200600_302600_NS5tupleIbffNS6_9null_typeES8_S8_S8_S8_S8_S8_EEEEZNS1_11reduce_implILb1ES3_PS9_SC_S9_12reduce_tupleIifEEE10hipError_tPvRmT1_T2_T3_mT4_P12ihipStream_tbEUlT_E1_NS1_11comp_targetILNS1_3genE10ELNS1_11target_archE1200ELNS1_3gpuE4ELNS1_3repE0EEENS1_30default_config_static_selectorELNS0_4arch9wavefront6targetE1EEEvSI_
	.globl	_ZN7rocprim17ROCPRIM_400000_NS6detail17trampoline_kernelINS0_14default_configENS1_22reduce_config_selectorIN6thrust23THRUST_200600_302600_NS5tupleIbffNS6_9null_typeES8_S8_S8_S8_S8_S8_EEEEZNS1_11reduce_implILb1ES3_PS9_SC_S9_12reduce_tupleIifEEE10hipError_tPvRmT1_T2_T3_mT4_P12ihipStream_tbEUlT_E1_NS1_11comp_targetILNS1_3genE10ELNS1_11target_archE1200ELNS1_3gpuE4ELNS1_3repE0EEENS1_30default_config_static_selectorELNS0_4arch9wavefront6targetE1EEEvSI_
	.p2align	8
	.type	_ZN7rocprim17ROCPRIM_400000_NS6detail17trampoline_kernelINS0_14default_configENS1_22reduce_config_selectorIN6thrust23THRUST_200600_302600_NS5tupleIbffNS6_9null_typeES8_S8_S8_S8_S8_S8_EEEEZNS1_11reduce_implILb1ES3_PS9_SC_S9_12reduce_tupleIifEEE10hipError_tPvRmT1_T2_T3_mT4_P12ihipStream_tbEUlT_E1_NS1_11comp_targetILNS1_3genE10ELNS1_11target_archE1200ELNS1_3gpuE4ELNS1_3repE0EEENS1_30default_config_static_selectorELNS0_4arch9wavefront6targetE1EEEvSI_,@function
_ZN7rocprim17ROCPRIM_400000_NS6detail17trampoline_kernelINS0_14default_configENS1_22reduce_config_selectorIN6thrust23THRUST_200600_302600_NS5tupleIbffNS6_9null_typeES8_S8_S8_S8_S8_S8_EEEEZNS1_11reduce_implILb1ES3_PS9_SC_S9_12reduce_tupleIifEEE10hipError_tPvRmT1_T2_T3_mT4_P12ihipStream_tbEUlT_E1_NS1_11comp_targetILNS1_3genE10ELNS1_11target_archE1200ELNS1_3gpuE4ELNS1_3repE0EEENS1_30default_config_static_selectorELNS0_4arch9wavefront6targetE1EEEvSI_: ; @_ZN7rocprim17ROCPRIM_400000_NS6detail17trampoline_kernelINS0_14default_configENS1_22reduce_config_selectorIN6thrust23THRUST_200600_302600_NS5tupleIbffNS6_9null_typeES8_S8_S8_S8_S8_S8_EEEEZNS1_11reduce_implILb1ES3_PS9_SC_S9_12reduce_tupleIifEEE10hipError_tPvRmT1_T2_T3_mT4_P12ihipStream_tbEUlT_E1_NS1_11comp_targetILNS1_3genE10ELNS1_11target_archE1200ELNS1_3gpuE4ELNS1_3repE0EEENS1_30default_config_static_selectorELNS0_4arch9wavefront6targetE1EEEvSI_
; %bb.0:
	.section	.rodata,"a",@progbits
	.p2align	6, 0x0
	.amdhsa_kernel _ZN7rocprim17ROCPRIM_400000_NS6detail17trampoline_kernelINS0_14default_configENS1_22reduce_config_selectorIN6thrust23THRUST_200600_302600_NS5tupleIbffNS6_9null_typeES8_S8_S8_S8_S8_S8_EEEEZNS1_11reduce_implILb1ES3_PS9_SC_S9_12reduce_tupleIifEEE10hipError_tPvRmT1_T2_T3_mT4_P12ihipStream_tbEUlT_E1_NS1_11comp_targetILNS1_3genE10ELNS1_11target_archE1200ELNS1_3gpuE4ELNS1_3repE0EEENS1_30default_config_static_selectorELNS0_4arch9wavefront6targetE1EEEvSI_
		.amdhsa_group_segment_fixed_size 0
		.amdhsa_private_segment_fixed_size 0
		.amdhsa_kernarg_size 48
		.amdhsa_user_sgpr_count 6
		.amdhsa_user_sgpr_private_segment_buffer 1
		.amdhsa_user_sgpr_dispatch_ptr 0
		.amdhsa_user_sgpr_queue_ptr 0
		.amdhsa_user_sgpr_kernarg_segment_ptr 1
		.amdhsa_user_sgpr_dispatch_id 0
		.amdhsa_user_sgpr_flat_scratch_init 0
		.amdhsa_user_sgpr_private_segment_size 0
		.amdhsa_uses_dynamic_stack 0
		.amdhsa_system_sgpr_private_segment_wavefront_offset 0
		.amdhsa_system_sgpr_workgroup_id_x 1
		.amdhsa_system_sgpr_workgroup_id_y 0
		.amdhsa_system_sgpr_workgroup_id_z 0
		.amdhsa_system_sgpr_workgroup_info 0
		.amdhsa_system_vgpr_workitem_id 0
		.amdhsa_next_free_vgpr 1
		.amdhsa_next_free_sgpr 0
		.amdhsa_reserve_vcc 0
		.amdhsa_reserve_flat_scratch 0
		.amdhsa_float_round_mode_32 0
		.amdhsa_float_round_mode_16_64 0
		.amdhsa_float_denorm_mode_32 3
		.amdhsa_float_denorm_mode_16_64 3
		.amdhsa_dx10_clamp 1
		.amdhsa_ieee_mode 1
		.amdhsa_fp16_overflow 0
		.amdhsa_exception_fp_ieee_invalid_op 0
		.amdhsa_exception_fp_denorm_src 0
		.amdhsa_exception_fp_ieee_div_zero 0
		.amdhsa_exception_fp_ieee_overflow 0
		.amdhsa_exception_fp_ieee_underflow 0
		.amdhsa_exception_fp_ieee_inexact 0
		.amdhsa_exception_int_div_zero 0
	.end_amdhsa_kernel
	.section	.text._ZN7rocprim17ROCPRIM_400000_NS6detail17trampoline_kernelINS0_14default_configENS1_22reduce_config_selectorIN6thrust23THRUST_200600_302600_NS5tupleIbffNS6_9null_typeES8_S8_S8_S8_S8_S8_EEEEZNS1_11reduce_implILb1ES3_PS9_SC_S9_12reduce_tupleIifEEE10hipError_tPvRmT1_T2_T3_mT4_P12ihipStream_tbEUlT_E1_NS1_11comp_targetILNS1_3genE10ELNS1_11target_archE1200ELNS1_3gpuE4ELNS1_3repE0EEENS1_30default_config_static_selectorELNS0_4arch9wavefront6targetE1EEEvSI_,"axG",@progbits,_ZN7rocprim17ROCPRIM_400000_NS6detail17trampoline_kernelINS0_14default_configENS1_22reduce_config_selectorIN6thrust23THRUST_200600_302600_NS5tupleIbffNS6_9null_typeES8_S8_S8_S8_S8_S8_EEEEZNS1_11reduce_implILb1ES3_PS9_SC_S9_12reduce_tupleIifEEE10hipError_tPvRmT1_T2_T3_mT4_P12ihipStream_tbEUlT_E1_NS1_11comp_targetILNS1_3genE10ELNS1_11target_archE1200ELNS1_3gpuE4ELNS1_3repE0EEENS1_30default_config_static_selectorELNS0_4arch9wavefront6targetE1EEEvSI_,comdat
.Lfunc_end16:
	.size	_ZN7rocprim17ROCPRIM_400000_NS6detail17trampoline_kernelINS0_14default_configENS1_22reduce_config_selectorIN6thrust23THRUST_200600_302600_NS5tupleIbffNS6_9null_typeES8_S8_S8_S8_S8_S8_EEEEZNS1_11reduce_implILb1ES3_PS9_SC_S9_12reduce_tupleIifEEE10hipError_tPvRmT1_T2_T3_mT4_P12ihipStream_tbEUlT_E1_NS1_11comp_targetILNS1_3genE10ELNS1_11target_archE1200ELNS1_3gpuE4ELNS1_3repE0EEENS1_30default_config_static_selectorELNS0_4arch9wavefront6targetE1EEEvSI_, .Lfunc_end16-_ZN7rocprim17ROCPRIM_400000_NS6detail17trampoline_kernelINS0_14default_configENS1_22reduce_config_selectorIN6thrust23THRUST_200600_302600_NS5tupleIbffNS6_9null_typeES8_S8_S8_S8_S8_S8_EEEEZNS1_11reduce_implILb1ES3_PS9_SC_S9_12reduce_tupleIifEEE10hipError_tPvRmT1_T2_T3_mT4_P12ihipStream_tbEUlT_E1_NS1_11comp_targetILNS1_3genE10ELNS1_11target_archE1200ELNS1_3gpuE4ELNS1_3repE0EEENS1_30default_config_static_selectorELNS0_4arch9wavefront6targetE1EEEvSI_
                                        ; -- End function
	.set _ZN7rocprim17ROCPRIM_400000_NS6detail17trampoline_kernelINS0_14default_configENS1_22reduce_config_selectorIN6thrust23THRUST_200600_302600_NS5tupleIbffNS6_9null_typeES8_S8_S8_S8_S8_S8_EEEEZNS1_11reduce_implILb1ES3_PS9_SC_S9_12reduce_tupleIifEEE10hipError_tPvRmT1_T2_T3_mT4_P12ihipStream_tbEUlT_E1_NS1_11comp_targetILNS1_3genE10ELNS1_11target_archE1200ELNS1_3gpuE4ELNS1_3repE0EEENS1_30default_config_static_selectorELNS0_4arch9wavefront6targetE1EEEvSI_.num_vgpr, 0
	.set _ZN7rocprim17ROCPRIM_400000_NS6detail17trampoline_kernelINS0_14default_configENS1_22reduce_config_selectorIN6thrust23THRUST_200600_302600_NS5tupleIbffNS6_9null_typeES8_S8_S8_S8_S8_S8_EEEEZNS1_11reduce_implILb1ES3_PS9_SC_S9_12reduce_tupleIifEEE10hipError_tPvRmT1_T2_T3_mT4_P12ihipStream_tbEUlT_E1_NS1_11comp_targetILNS1_3genE10ELNS1_11target_archE1200ELNS1_3gpuE4ELNS1_3repE0EEENS1_30default_config_static_selectorELNS0_4arch9wavefront6targetE1EEEvSI_.num_agpr, 0
	.set _ZN7rocprim17ROCPRIM_400000_NS6detail17trampoline_kernelINS0_14default_configENS1_22reduce_config_selectorIN6thrust23THRUST_200600_302600_NS5tupleIbffNS6_9null_typeES8_S8_S8_S8_S8_S8_EEEEZNS1_11reduce_implILb1ES3_PS9_SC_S9_12reduce_tupleIifEEE10hipError_tPvRmT1_T2_T3_mT4_P12ihipStream_tbEUlT_E1_NS1_11comp_targetILNS1_3genE10ELNS1_11target_archE1200ELNS1_3gpuE4ELNS1_3repE0EEENS1_30default_config_static_selectorELNS0_4arch9wavefront6targetE1EEEvSI_.numbered_sgpr, 0
	.set _ZN7rocprim17ROCPRIM_400000_NS6detail17trampoline_kernelINS0_14default_configENS1_22reduce_config_selectorIN6thrust23THRUST_200600_302600_NS5tupleIbffNS6_9null_typeES8_S8_S8_S8_S8_S8_EEEEZNS1_11reduce_implILb1ES3_PS9_SC_S9_12reduce_tupleIifEEE10hipError_tPvRmT1_T2_T3_mT4_P12ihipStream_tbEUlT_E1_NS1_11comp_targetILNS1_3genE10ELNS1_11target_archE1200ELNS1_3gpuE4ELNS1_3repE0EEENS1_30default_config_static_selectorELNS0_4arch9wavefront6targetE1EEEvSI_.num_named_barrier, 0
	.set _ZN7rocprim17ROCPRIM_400000_NS6detail17trampoline_kernelINS0_14default_configENS1_22reduce_config_selectorIN6thrust23THRUST_200600_302600_NS5tupleIbffNS6_9null_typeES8_S8_S8_S8_S8_S8_EEEEZNS1_11reduce_implILb1ES3_PS9_SC_S9_12reduce_tupleIifEEE10hipError_tPvRmT1_T2_T3_mT4_P12ihipStream_tbEUlT_E1_NS1_11comp_targetILNS1_3genE10ELNS1_11target_archE1200ELNS1_3gpuE4ELNS1_3repE0EEENS1_30default_config_static_selectorELNS0_4arch9wavefront6targetE1EEEvSI_.private_seg_size, 0
	.set _ZN7rocprim17ROCPRIM_400000_NS6detail17trampoline_kernelINS0_14default_configENS1_22reduce_config_selectorIN6thrust23THRUST_200600_302600_NS5tupleIbffNS6_9null_typeES8_S8_S8_S8_S8_S8_EEEEZNS1_11reduce_implILb1ES3_PS9_SC_S9_12reduce_tupleIifEEE10hipError_tPvRmT1_T2_T3_mT4_P12ihipStream_tbEUlT_E1_NS1_11comp_targetILNS1_3genE10ELNS1_11target_archE1200ELNS1_3gpuE4ELNS1_3repE0EEENS1_30default_config_static_selectorELNS0_4arch9wavefront6targetE1EEEvSI_.uses_vcc, 0
	.set _ZN7rocprim17ROCPRIM_400000_NS6detail17trampoline_kernelINS0_14default_configENS1_22reduce_config_selectorIN6thrust23THRUST_200600_302600_NS5tupleIbffNS6_9null_typeES8_S8_S8_S8_S8_S8_EEEEZNS1_11reduce_implILb1ES3_PS9_SC_S9_12reduce_tupleIifEEE10hipError_tPvRmT1_T2_T3_mT4_P12ihipStream_tbEUlT_E1_NS1_11comp_targetILNS1_3genE10ELNS1_11target_archE1200ELNS1_3gpuE4ELNS1_3repE0EEENS1_30default_config_static_selectorELNS0_4arch9wavefront6targetE1EEEvSI_.uses_flat_scratch, 0
	.set _ZN7rocprim17ROCPRIM_400000_NS6detail17trampoline_kernelINS0_14default_configENS1_22reduce_config_selectorIN6thrust23THRUST_200600_302600_NS5tupleIbffNS6_9null_typeES8_S8_S8_S8_S8_S8_EEEEZNS1_11reduce_implILb1ES3_PS9_SC_S9_12reduce_tupleIifEEE10hipError_tPvRmT1_T2_T3_mT4_P12ihipStream_tbEUlT_E1_NS1_11comp_targetILNS1_3genE10ELNS1_11target_archE1200ELNS1_3gpuE4ELNS1_3repE0EEENS1_30default_config_static_selectorELNS0_4arch9wavefront6targetE1EEEvSI_.has_dyn_sized_stack, 0
	.set _ZN7rocprim17ROCPRIM_400000_NS6detail17trampoline_kernelINS0_14default_configENS1_22reduce_config_selectorIN6thrust23THRUST_200600_302600_NS5tupleIbffNS6_9null_typeES8_S8_S8_S8_S8_S8_EEEEZNS1_11reduce_implILb1ES3_PS9_SC_S9_12reduce_tupleIifEEE10hipError_tPvRmT1_T2_T3_mT4_P12ihipStream_tbEUlT_E1_NS1_11comp_targetILNS1_3genE10ELNS1_11target_archE1200ELNS1_3gpuE4ELNS1_3repE0EEENS1_30default_config_static_selectorELNS0_4arch9wavefront6targetE1EEEvSI_.has_recursion, 0
	.set _ZN7rocprim17ROCPRIM_400000_NS6detail17trampoline_kernelINS0_14default_configENS1_22reduce_config_selectorIN6thrust23THRUST_200600_302600_NS5tupleIbffNS6_9null_typeES8_S8_S8_S8_S8_S8_EEEEZNS1_11reduce_implILb1ES3_PS9_SC_S9_12reduce_tupleIifEEE10hipError_tPvRmT1_T2_T3_mT4_P12ihipStream_tbEUlT_E1_NS1_11comp_targetILNS1_3genE10ELNS1_11target_archE1200ELNS1_3gpuE4ELNS1_3repE0EEENS1_30default_config_static_selectorELNS0_4arch9wavefront6targetE1EEEvSI_.has_indirect_call, 0
	.section	.AMDGPU.csdata,"",@progbits
; Kernel info:
; codeLenInByte = 0
; TotalNumSgprs: 4
; NumVgprs: 0
; ScratchSize: 0
; MemoryBound: 0
; FloatMode: 240
; IeeeMode: 1
; LDSByteSize: 0 bytes/workgroup (compile time only)
; SGPRBlocks: 0
; VGPRBlocks: 0
; NumSGPRsForWavesPerEU: 4
; NumVGPRsForWavesPerEU: 1
; Occupancy: 10
; WaveLimiterHint : 0
; COMPUTE_PGM_RSRC2:SCRATCH_EN: 0
; COMPUTE_PGM_RSRC2:USER_SGPR: 6
; COMPUTE_PGM_RSRC2:TRAP_HANDLER: 0
; COMPUTE_PGM_RSRC2:TGID_X_EN: 1
; COMPUTE_PGM_RSRC2:TGID_Y_EN: 0
; COMPUTE_PGM_RSRC2:TGID_Z_EN: 0
; COMPUTE_PGM_RSRC2:TIDIG_COMP_CNT: 0
	.section	.text._ZN7rocprim17ROCPRIM_400000_NS6detail17trampoline_kernelINS0_14default_configENS1_22reduce_config_selectorIN6thrust23THRUST_200600_302600_NS5tupleIbffNS6_9null_typeES8_S8_S8_S8_S8_S8_EEEEZNS1_11reduce_implILb1ES3_PS9_SC_S9_12reduce_tupleIifEEE10hipError_tPvRmT1_T2_T3_mT4_P12ihipStream_tbEUlT_E1_NS1_11comp_targetILNS1_3genE9ELNS1_11target_archE1100ELNS1_3gpuE3ELNS1_3repE0EEENS1_30default_config_static_selectorELNS0_4arch9wavefront6targetE1EEEvSI_,"axG",@progbits,_ZN7rocprim17ROCPRIM_400000_NS6detail17trampoline_kernelINS0_14default_configENS1_22reduce_config_selectorIN6thrust23THRUST_200600_302600_NS5tupleIbffNS6_9null_typeES8_S8_S8_S8_S8_S8_EEEEZNS1_11reduce_implILb1ES3_PS9_SC_S9_12reduce_tupleIifEEE10hipError_tPvRmT1_T2_T3_mT4_P12ihipStream_tbEUlT_E1_NS1_11comp_targetILNS1_3genE9ELNS1_11target_archE1100ELNS1_3gpuE3ELNS1_3repE0EEENS1_30default_config_static_selectorELNS0_4arch9wavefront6targetE1EEEvSI_,comdat
	.protected	_ZN7rocprim17ROCPRIM_400000_NS6detail17trampoline_kernelINS0_14default_configENS1_22reduce_config_selectorIN6thrust23THRUST_200600_302600_NS5tupleIbffNS6_9null_typeES8_S8_S8_S8_S8_S8_EEEEZNS1_11reduce_implILb1ES3_PS9_SC_S9_12reduce_tupleIifEEE10hipError_tPvRmT1_T2_T3_mT4_P12ihipStream_tbEUlT_E1_NS1_11comp_targetILNS1_3genE9ELNS1_11target_archE1100ELNS1_3gpuE3ELNS1_3repE0EEENS1_30default_config_static_selectorELNS0_4arch9wavefront6targetE1EEEvSI_ ; -- Begin function _ZN7rocprim17ROCPRIM_400000_NS6detail17trampoline_kernelINS0_14default_configENS1_22reduce_config_selectorIN6thrust23THRUST_200600_302600_NS5tupleIbffNS6_9null_typeES8_S8_S8_S8_S8_S8_EEEEZNS1_11reduce_implILb1ES3_PS9_SC_S9_12reduce_tupleIifEEE10hipError_tPvRmT1_T2_T3_mT4_P12ihipStream_tbEUlT_E1_NS1_11comp_targetILNS1_3genE9ELNS1_11target_archE1100ELNS1_3gpuE3ELNS1_3repE0EEENS1_30default_config_static_selectorELNS0_4arch9wavefront6targetE1EEEvSI_
	.globl	_ZN7rocprim17ROCPRIM_400000_NS6detail17trampoline_kernelINS0_14default_configENS1_22reduce_config_selectorIN6thrust23THRUST_200600_302600_NS5tupleIbffNS6_9null_typeES8_S8_S8_S8_S8_S8_EEEEZNS1_11reduce_implILb1ES3_PS9_SC_S9_12reduce_tupleIifEEE10hipError_tPvRmT1_T2_T3_mT4_P12ihipStream_tbEUlT_E1_NS1_11comp_targetILNS1_3genE9ELNS1_11target_archE1100ELNS1_3gpuE3ELNS1_3repE0EEENS1_30default_config_static_selectorELNS0_4arch9wavefront6targetE1EEEvSI_
	.p2align	8
	.type	_ZN7rocprim17ROCPRIM_400000_NS6detail17trampoline_kernelINS0_14default_configENS1_22reduce_config_selectorIN6thrust23THRUST_200600_302600_NS5tupleIbffNS6_9null_typeES8_S8_S8_S8_S8_S8_EEEEZNS1_11reduce_implILb1ES3_PS9_SC_S9_12reduce_tupleIifEEE10hipError_tPvRmT1_T2_T3_mT4_P12ihipStream_tbEUlT_E1_NS1_11comp_targetILNS1_3genE9ELNS1_11target_archE1100ELNS1_3gpuE3ELNS1_3repE0EEENS1_30default_config_static_selectorELNS0_4arch9wavefront6targetE1EEEvSI_,@function
_ZN7rocprim17ROCPRIM_400000_NS6detail17trampoline_kernelINS0_14default_configENS1_22reduce_config_selectorIN6thrust23THRUST_200600_302600_NS5tupleIbffNS6_9null_typeES8_S8_S8_S8_S8_S8_EEEEZNS1_11reduce_implILb1ES3_PS9_SC_S9_12reduce_tupleIifEEE10hipError_tPvRmT1_T2_T3_mT4_P12ihipStream_tbEUlT_E1_NS1_11comp_targetILNS1_3genE9ELNS1_11target_archE1100ELNS1_3gpuE3ELNS1_3repE0EEENS1_30default_config_static_selectorELNS0_4arch9wavefront6targetE1EEEvSI_: ; @_ZN7rocprim17ROCPRIM_400000_NS6detail17trampoline_kernelINS0_14default_configENS1_22reduce_config_selectorIN6thrust23THRUST_200600_302600_NS5tupleIbffNS6_9null_typeES8_S8_S8_S8_S8_S8_EEEEZNS1_11reduce_implILb1ES3_PS9_SC_S9_12reduce_tupleIifEEE10hipError_tPvRmT1_T2_T3_mT4_P12ihipStream_tbEUlT_E1_NS1_11comp_targetILNS1_3genE9ELNS1_11target_archE1100ELNS1_3gpuE3ELNS1_3repE0EEENS1_30default_config_static_selectorELNS0_4arch9wavefront6targetE1EEEvSI_
; %bb.0:
	.section	.rodata,"a",@progbits
	.p2align	6, 0x0
	.amdhsa_kernel _ZN7rocprim17ROCPRIM_400000_NS6detail17trampoline_kernelINS0_14default_configENS1_22reduce_config_selectorIN6thrust23THRUST_200600_302600_NS5tupleIbffNS6_9null_typeES8_S8_S8_S8_S8_S8_EEEEZNS1_11reduce_implILb1ES3_PS9_SC_S9_12reduce_tupleIifEEE10hipError_tPvRmT1_T2_T3_mT4_P12ihipStream_tbEUlT_E1_NS1_11comp_targetILNS1_3genE9ELNS1_11target_archE1100ELNS1_3gpuE3ELNS1_3repE0EEENS1_30default_config_static_selectorELNS0_4arch9wavefront6targetE1EEEvSI_
		.amdhsa_group_segment_fixed_size 0
		.amdhsa_private_segment_fixed_size 0
		.amdhsa_kernarg_size 48
		.amdhsa_user_sgpr_count 6
		.amdhsa_user_sgpr_private_segment_buffer 1
		.amdhsa_user_sgpr_dispatch_ptr 0
		.amdhsa_user_sgpr_queue_ptr 0
		.amdhsa_user_sgpr_kernarg_segment_ptr 1
		.amdhsa_user_sgpr_dispatch_id 0
		.amdhsa_user_sgpr_flat_scratch_init 0
		.amdhsa_user_sgpr_private_segment_size 0
		.amdhsa_uses_dynamic_stack 0
		.amdhsa_system_sgpr_private_segment_wavefront_offset 0
		.amdhsa_system_sgpr_workgroup_id_x 1
		.amdhsa_system_sgpr_workgroup_id_y 0
		.amdhsa_system_sgpr_workgroup_id_z 0
		.amdhsa_system_sgpr_workgroup_info 0
		.amdhsa_system_vgpr_workitem_id 0
		.amdhsa_next_free_vgpr 1
		.amdhsa_next_free_sgpr 0
		.amdhsa_reserve_vcc 0
		.amdhsa_reserve_flat_scratch 0
		.amdhsa_float_round_mode_32 0
		.amdhsa_float_round_mode_16_64 0
		.amdhsa_float_denorm_mode_32 3
		.amdhsa_float_denorm_mode_16_64 3
		.amdhsa_dx10_clamp 1
		.amdhsa_ieee_mode 1
		.amdhsa_fp16_overflow 0
		.amdhsa_exception_fp_ieee_invalid_op 0
		.amdhsa_exception_fp_denorm_src 0
		.amdhsa_exception_fp_ieee_div_zero 0
		.amdhsa_exception_fp_ieee_overflow 0
		.amdhsa_exception_fp_ieee_underflow 0
		.amdhsa_exception_fp_ieee_inexact 0
		.amdhsa_exception_int_div_zero 0
	.end_amdhsa_kernel
	.section	.text._ZN7rocprim17ROCPRIM_400000_NS6detail17trampoline_kernelINS0_14default_configENS1_22reduce_config_selectorIN6thrust23THRUST_200600_302600_NS5tupleIbffNS6_9null_typeES8_S8_S8_S8_S8_S8_EEEEZNS1_11reduce_implILb1ES3_PS9_SC_S9_12reduce_tupleIifEEE10hipError_tPvRmT1_T2_T3_mT4_P12ihipStream_tbEUlT_E1_NS1_11comp_targetILNS1_3genE9ELNS1_11target_archE1100ELNS1_3gpuE3ELNS1_3repE0EEENS1_30default_config_static_selectorELNS0_4arch9wavefront6targetE1EEEvSI_,"axG",@progbits,_ZN7rocprim17ROCPRIM_400000_NS6detail17trampoline_kernelINS0_14default_configENS1_22reduce_config_selectorIN6thrust23THRUST_200600_302600_NS5tupleIbffNS6_9null_typeES8_S8_S8_S8_S8_S8_EEEEZNS1_11reduce_implILb1ES3_PS9_SC_S9_12reduce_tupleIifEEE10hipError_tPvRmT1_T2_T3_mT4_P12ihipStream_tbEUlT_E1_NS1_11comp_targetILNS1_3genE9ELNS1_11target_archE1100ELNS1_3gpuE3ELNS1_3repE0EEENS1_30default_config_static_selectorELNS0_4arch9wavefront6targetE1EEEvSI_,comdat
.Lfunc_end17:
	.size	_ZN7rocprim17ROCPRIM_400000_NS6detail17trampoline_kernelINS0_14default_configENS1_22reduce_config_selectorIN6thrust23THRUST_200600_302600_NS5tupleIbffNS6_9null_typeES8_S8_S8_S8_S8_S8_EEEEZNS1_11reduce_implILb1ES3_PS9_SC_S9_12reduce_tupleIifEEE10hipError_tPvRmT1_T2_T3_mT4_P12ihipStream_tbEUlT_E1_NS1_11comp_targetILNS1_3genE9ELNS1_11target_archE1100ELNS1_3gpuE3ELNS1_3repE0EEENS1_30default_config_static_selectorELNS0_4arch9wavefront6targetE1EEEvSI_, .Lfunc_end17-_ZN7rocprim17ROCPRIM_400000_NS6detail17trampoline_kernelINS0_14default_configENS1_22reduce_config_selectorIN6thrust23THRUST_200600_302600_NS5tupleIbffNS6_9null_typeES8_S8_S8_S8_S8_S8_EEEEZNS1_11reduce_implILb1ES3_PS9_SC_S9_12reduce_tupleIifEEE10hipError_tPvRmT1_T2_T3_mT4_P12ihipStream_tbEUlT_E1_NS1_11comp_targetILNS1_3genE9ELNS1_11target_archE1100ELNS1_3gpuE3ELNS1_3repE0EEENS1_30default_config_static_selectorELNS0_4arch9wavefront6targetE1EEEvSI_
                                        ; -- End function
	.set _ZN7rocprim17ROCPRIM_400000_NS6detail17trampoline_kernelINS0_14default_configENS1_22reduce_config_selectorIN6thrust23THRUST_200600_302600_NS5tupleIbffNS6_9null_typeES8_S8_S8_S8_S8_S8_EEEEZNS1_11reduce_implILb1ES3_PS9_SC_S9_12reduce_tupleIifEEE10hipError_tPvRmT1_T2_T3_mT4_P12ihipStream_tbEUlT_E1_NS1_11comp_targetILNS1_3genE9ELNS1_11target_archE1100ELNS1_3gpuE3ELNS1_3repE0EEENS1_30default_config_static_selectorELNS0_4arch9wavefront6targetE1EEEvSI_.num_vgpr, 0
	.set _ZN7rocprim17ROCPRIM_400000_NS6detail17trampoline_kernelINS0_14default_configENS1_22reduce_config_selectorIN6thrust23THRUST_200600_302600_NS5tupleIbffNS6_9null_typeES8_S8_S8_S8_S8_S8_EEEEZNS1_11reduce_implILb1ES3_PS9_SC_S9_12reduce_tupleIifEEE10hipError_tPvRmT1_T2_T3_mT4_P12ihipStream_tbEUlT_E1_NS1_11comp_targetILNS1_3genE9ELNS1_11target_archE1100ELNS1_3gpuE3ELNS1_3repE0EEENS1_30default_config_static_selectorELNS0_4arch9wavefront6targetE1EEEvSI_.num_agpr, 0
	.set _ZN7rocprim17ROCPRIM_400000_NS6detail17trampoline_kernelINS0_14default_configENS1_22reduce_config_selectorIN6thrust23THRUST_200600_302600_NS5tupleIbffNS6_9null_typeES8_S8_S8_S8_S8_S8_EEEEZNS1_11reduce_implILb1ES3_PS9_SC_S9_12reduce_tupleIifEEE10hipError_tPvRmT1_T2_T3_mT4_P12ihipStream_tbEUlT_E1_NS1_11comp_targetILNS1_3genE9ELNS1_11target_archE1100ELNS1_3gpuE3ELNS1_3repE0EEENS1_30default_config_static_selectorELNS0_4arch9wavefront6targetE1EEEvSI_.numbered_sgpr, 0
	.set _ZN7rocprim17ROCPRIM_400000_NS6detail17trampoline_kernelINS0_14default_configENS1_22reduce_config_selectorIN6thrust23THRUST_200600_302600_NS5tupleIbffNS6_9null_typeES8_S8_S8_S8_S8_S8_EEEEZNS1_11reduce_implILb1ES3_PS9_SC_S9_12reduce_tupleIifEEE10hipError_tPvRmT1_T2_T3_mT4_P12ihipStream_tbEUlT_E1_NS1_11comp_targetILNS1_3genE9ELNS1_11target_archE1100ELNS1_3gpuE3ELNS1_3repE0EEENS1_30default_config_static_selectorELNS0_4arch9wavefront6targetE1EEEvSI_.num_named_barrier, 0
	.set _ZN7rocprim17ROCPRIM_400000_NS6detail17trampoline_kernelINS0_14default_configENS1_22reduce_config_selectorIN6thrust23THRUST_200600_302600_NS5tupleIbffNS6_9null_typeES8_S8_S8_S8_S8_S8_EEEEZNS1_11reduce_implILb1ES3_PS9_SC_S9_12reduce_tupleIifEEE10hipError_tPvRmT1_T2_T3_mT4_P12ihipStream_tbEUlT_E1_NS1_11comp_targetILNS1_3genE9ELNS1_11target_archE1100ELNS1_3gpuE3ELNS1_3repE0EEENS1_30default_config_static_selectorELNS0_4arch9wavefront6targetE1EEEvSI_.private_seg_size, 0
	.set _ZN7rocprim17ROCPRIM_400000_NS6detail17trampoline_kernelINS0_14default_configENS1_22reduce_config_selectorIN6thrust23THRUST_200600_302600_NS5tupleIbffNS6_9null_typeES8_S8_S8_S8_S8_S8_EEEEZNS1_11reduce_implILb1ES3_PS9_SC_S9_12reduce_tupleIifEEE10hipError_tPvRmT1_T2_T3_mT4_P12ihipStream_tbEUlT_E1_NS1_11comp_targetILNS1_3genE9ELNS1_11target_archE1100ELNS1_3gpuE3ELNS1_3repE0EEENS1_30default_config_static_selectorELNS0_4arch9wavefront6targetE1EEEvSI_.uses_vcc, 0
	.set _ZN7rocprim17ROCPRIM_400000_NS6detail17trampoline_kernelINS0_14default_configENS1_22reduce_config_selectorIN6thrust23THRUST_200600_302600_NS5tupleIbffNS6_9null_typeES8_S8_S8_S8_S8_S8_EEEEZNS1_11reduce_implILb1ES3_PS9_SC_S9_12reduce_tupleIifEEE10hipError_tPvRmT1_T2_T3_mT4_P12ihipStream_tbEUlT_E1_NS1_11comp_targetILNS1_3genE9ELNS1_11target_archE1100ELNS1_3gpuE3ELNS1_3repE0EEENS1_30default_config_static_selectorELNS0_4arch9wavefront6targetE1EEEvSI_.uses_flat_scratch, 0
	.set _ZN7rocprim17ROCPRIM_400000_NS6detail17trampoline_kernelINS0_14default_configENS1_22reduce_config_selectorIN6thrust23THRUST_200600_302600_NS5tupleIbffNS6_9null_typeES8_S8_S8_S8_S8_S8_EEEEZNS1_11reduce_implILb1ES3_PS9_SC_S9_12reduce_tupleIifEEE10hipError_tPvRmT1_T2_T3_mT4_P12ihipStream_tbEUlT_E1_NS1_11comp_targetILNS1_3genE9ELNS1_11target_archE1100ELNS1_3gpuE3ELNS1_3repE0EEENS1_30default_config_static_selectorELNS0_4arch9wavefront6targetE1EEEvSI_.has_dyn_sized_stack, 0
	.set _ZN7rocprim17ROCPRIM_400000_NS6detail17trampoline_kernelINS0_14default_configENS1_22reduce_config_selectorIN6thrust23THRUST_200600_302600_NS5tupleIbffNS6_9null_typeES8_S8_S8_S8_S8_S8_EEEEZNS1_11reduce_implILb1ES3_PS9_SC_S9_12reduce_tupleIifEEE10hipError_tPvRmT1_T2_T3_mT4_P12ihipStream_tbEUlT_E1_NS1_11comp_targetILNS1_3genE9ELNS1_11target_archE1100ELNS1_3gpuE3ELNS1_3repE0EEENS1_30default_config_static_selectorELNS0_4arch9wavefront6targetE1EEEvSI_.has_recursion, 0
	.set _ZN7rocprim17ROCPRIM_400000_NS6detail17trampoline_kernelINS0_14default_configENS1_22reduce_config_selectorIN6thrust23THRUST_200600_302600_NS5tupleIbffNS6_9null_typeES8_S8_S8_S8_S8_S8_EEEEZNS1_11reduce_implILb1ES3_PS9_SC_S9_12reduce_tupleIifEEE10hipError_tPvRmT1_T2_T3_mT4_P12ihipStream_tbEUlT_E1_NS1_11comp_targetILNS1_3genE9ELNS1_11target_archE1100ELNS1_3gpuE3ELNS1_3repE0EEENS1_30default_config_static_selectorELNS0_4arch9wavefront6targetE1EEEvSI_.has_indirect_call, 0
	.section	.AMDGPU.csdata,"",@progbits
; Kernel info:
; codeLenInByte = 0
; TotalNumSgprs: 4
; NumVgprs: 0
; ScratchSize: 0
; MemoryBound: 0
; FloatMode: 240
; IeeeMode: 1
; LDSByteSize: 0 bytes/workgroup (compile time only)
; SGPRBlocks: 0
; VGPRBlocks: 0
; NumSGPRsForWavesPerEU: 4
; NumVGPRsForWavesPerEU: 1
; Occupancy: 10
; WaveLimiterHint : 0
; COMPUTE_PGM_RSRC2:SCRATCH_EN: 0
; COMPUTE_PGM_RSRC2:USER_SGPR: 6
; COMPUTE_PGM_RSRC2:TRAP_HANDLER: 0
; COMPUTE_PGM_RSRC2:TGID_X_EN: 1
; COMPUTE_PGM_RSRC2:TGID_Y_EN: 0
; COMPUTE_PGM_RSRC2:TGID_Z_EN: 0
; COMPUTE_PGM_RSRC2:TIDIG_COMP_CNT: 0
	.section	.text._ZN7rocprim17ROCPRIM_400000_NS6detail17trampoline_kernelINS0_14default_configENS1_22reduce_config_selectorIN6thrust23THRUST_200600_302600_NS5tupleIbffNS6_9null_typeES8_S8_S8_S8_S8_S8_EEEEZNS1_11reduce_implILb1ES3_PS9_SC_S9_12reduce_tupleIifEEE10hipError_tPvRmT1_T2_T3_mT4_P12ihipStream_tbEUlT_E1_NS1_11comp_targetILNS1_3genE8ELNS1_11target_archE1030ELNS1_3gpuE2ELNS1_3repE0EEENS1_30default_config_static_selectorELNS0_4arch9wavefront6targetE1EEEvSI_,"axG",@progbits,_ZN7rocprim17ROCPRIM_400000_NS6detail17trampoline_kernelINS0_14default_configENS1_22reduce_config_selectorIN6thrust23THRUST_200600_302600_NS5tupleIbffNS6_9null_typeES8_S8_S8_S8_S8_S8_EEEEZNS1_11reduce_implILb1ES3_PS9_SC_S9_12reduce_tupleIifEEE10hipError_tPvRmT1_T2_T3_mT4_P12ihipStream_tbEUlT_E1_NS1_11comp_targetILNS1_3genE8ELNS1_11target_archE1030ELNS1_3gpuE2ELNS1_3repE0EEENS1_30default_config_static_selectorELNS0_4arch9wavefront6targetE1EEEvSI_,comdat
	.protected	_ZN7rocprim17ROCPRIM_400000_NS6detail17trampoline_kernelINS0_14default_configENS1_22reduce_config_selectorIN6thrust23THRUST_200600_302600_NS5tupleIbffNS6_9null_typeES8_S8_S8_S8_S8_S8_EEEEZNS1_11reduce_implILb1ES3_PS9_SC_S9_12reduce_tupleIifEEE10hipError_tPvRmT1_T2_T3_mT4_P12ihipStream_tbEUlT_E1_NS1_11comp_targetILNS1_3genE8ELNS1_11target_archE1030ELNS1_3gpuE2ELNS1_3repE0EEENS1_30default_config_static_selectorELNS0_4arch9wavefront6targetE1EEEvSI_ ; -- Begin function _ZN7rocprim17ROCPRIM_400000_NS6detail17trampoline_kernelINS0_14default_configENS1_22reduce_config_selectorIN6thrust23THRUST_200600_302600_NS5tupleIbffNS6_9null_typeES8_S8_S8_S8_S8_S8_EEEEZNS1_11reduce_implILb1ES3_PS9_SC_S9_12reduce_tupleIifEEE10hipError_tPvRmT1_T2_T3_mT4_P12ihipStream_tbEUlT_E1_NS1_11comp_targetILNS1_3genE8ELNS1_11target_archE1030ELNS1_3gpuE2ELNS1_3repE0EEENS1_30default_config_static_selectorELNS0_4arch9wavefront6targetE1EEEvSI_
	.globl	_ZN7rocprim17ROCPRIM_400000_NS6detail17trampoline_kernelINS0_14default_configENS1_22reduce_config_selectorIN6thrust23THRUST_200600_302600_NS5tupleIbffNS6_9null_typeES8_S8_S8_S8_S8_S8_EEEEZNS1_11reduce_implILb1ES3_PS9_SC_S9_12reduce_tupleIifEEE10hipError_tPvRmT1_T2_T3_mT4_P12ihipStream_tbEUlT_E1_NS1_11comp_targetILNS1_3genE8ELNS1_11target_archE1030ELNS1_3gpuE2ELNS1_3repE0EEENS1_30default_config_static_selectorELNS0_4arch9wavefront6targetE1EEEvSI_
	.p2align	8
	.type	_ZN7rocprim17ROCPRIM_400000_NS6detail17trampoline_kernelINS0_14default_configENS1_22reduce_config_selectorIN6thrust23THRUST_200600_302600_NS5tupleIbffNS6_9null_typeES8_S8_S8_S8_S8_S8_EEEEZNS1_11reduce_implILb1ES3_PS9_SC_S9_12reduce_tupleIifEEE10hipError_tPvRmT1_T2_T3_mT4_P12ihipStream_tbEUlT_E1_NS1_11comp_targetILNS1_3genE8ELNS1_11target_archE1030ELNS1_3gpuE2ELNS1_3repE0EEENS1_30default_config_static_selectorELNS0_4arch9wavefront6targetE1EEEvSI_,@function
_ZN7rocprim17ROCPRIM_400000_NS6detail17trampoline_kernelINS0_14default_configENS1_22reduce_config_selectorIN6thrust23THRUST_200600_302600_NS5tupleIbffNS6_9null_typeES8_S8_S8_S8_S8_S8_EEEEZNS1_11reduce_implILb1ES3_PS9_SC_S9_12reduce_tupleIifEEE10hipError_tPvRmT1_T2_T3_mT4_P12ihipStream_tbEUlT_E1_NS1_11comp_targetILNS1_3genE8ELNS1_11target_archE1030ELNS1_3gpuE2ELNS1_3repE0EEENS1_30default_config_static_selectorELNS0_4arch9wavefront6targetE1EEEvSI_: ; @_ZN7rocprim17ROCPRIM_400000_NS6detail17trampoline_kernelINS0_14default_configENS1_22reduce_config_selectorIN6thrust23THRUST_200600_302600_NS5tupleIbffNS6_9null_typeES8_S8_S8_S8_S8_S8_EEEEZNS1_11reduce_implILb1ES3_PS9_SC_S9_12reduce_tupleIifEEE10hipError_tPvRmT1_T2_T3_mT4_P12ihipStream_tbEUlT_E1_NS1_11comp_targetILNS1_3genE8ELNS1_11target_archE1030ELNS1_3gpuE2ELNS1_3repE0EEENS1_30default_config_static_selectorELNS0_4arch9wavefront6targetE1EEEvSI_
; %bb.0:
	.section	.rodata,"a",@progbits
	.p2align	6, 0x0
	.amdhsa_kernel _ZN7rocprim17ROCPRIM_400000_NS6detail17trampoline_kernelINS0_14default_configENS1_22reduce_config_selectorIN6thrust23THRUST_200600_302600_NS5tupleIbffNS6_9null_typeES8_S8_S8_S8_S8_S8_EEEEZNS1_11reduce_implILb1ES3_PS9_SC_S9_12reduce_tupleIifEEE10hipError_tPvRmT1_T2_T3_mT4_P12ihipStream_tbEUlT_E1_NS1_11comp_targetILNS1_3genE8ELNS1_11target_archE1030ELNS1_3gpuE2ELNS1_3repE0EEENS1_30default_config_static_selectorELNS0_4arch9wavefront6targetE1EEEvSI_
		.amdhsa_group_segment_fixed_size 0
		.amdhsa_private_segment_fixed_size 0
		.amdhsa_kernarg_size 48
		.amdhsa_user_sgpr_count 6
		.amdhsa_user_sgpr_private_segment_buffer 1
		.amdhsa_user_sgpr_dispatch_ptr 0
		.amdhsa_user_sgpr_queue_ptr 0
		.amdhsa_user_sgpr_kernarg_segment_ptr 1
		.amdhsa_user_sgpr_dispatch_id 0
		.amdhsa_user_sgpr_flat_scratch_init 0
		.amdhsa_user_sgpr_private_segment_size 0
		.amdhsa_uses_dynamic_stack 0
		.amdhsa_system_sgpr_private_segment_wavefront_offset 0
		.amdhsa_system_sgpr_workgroup_id_x 1
		.amdhsa_system_sgpr_workgroup_id_y 0
		.amdhsa_system_sgpr_workgroup_id_z 0
		.amdhsa_system_sgpr_workgroup_info 0
		.amdhsa_system_vgpr_workitem_id 0
		.amdhsa_next_free_vgpr 1
		.amdhsa_next_free_sgpr 0
		.amdhsa_reserve_vcc 0
		.amdhsa_reserve_flat_scratch 0
		.amdhsa_float_round_mode_32 0
		.amdhsa_float_round_mode_16_64 0
		.amdhsa_float_denorm_mode_32 3
		.amdhsa_float_denorm_mode_16_64 3
		.amdhsa_dx10_clamp 1
		.amdhsa_ieee_mode 1
		.amdhsa_fp16_overflow 0
		.amdhsa_exception_fp_ieee_invalid_op 0
		.amdhsa_exception_fp_denorm_src 0
		.amdhsa_exception_fp_ieee_div_zero 0
		.amdhsa_exception_fp_ieee_overflow 0
		.amdhsa_exception_fp_ieee_underflow 0
		.amdhsa_exception_fp_ieee_inexact 0
		.amdhsa_exception_int_div_zero 0
	.end_amdhsa_kernel
	.section	.text._ZN7rocprim17ROCPRIM_400000_NS6detail17trampoline_kernelINS0_14default_configENS1_22reduce_config_selectorIN6thrust23THRUST_200600_302600_NS5tupleIbffNS6_9null_typeES8_S8_S8_S8_S8_S8_EEEEZNS1_11reduce_implILb1ES3_PS9_SC_S9_12reduce_tupleIifEEE10hipError_tPvRmT1_T2_T3_mT4_P12ihipStream_tbEUlT_E1_NS1_11comp_targetILNS1_3genE8ELNS1_11target_archE1030ELNS1_3gpuE2ELNS1_3repE0EEENS1_30default_config_static_selectorELNS0_4arch9wavefront6targetE1EEEvSI_,"axG",@progbits,_ZN7rocprim17ROCPRIM_400000_NS6detail17trampoline_kernelINS0_14default_configENS1_22reduce_config_selectorIN6thrust23THRUST_200600_302600_NS5tupleIbffNS6_9null_typeES8_S8_S8_S8_S8_S8_EEEEZNS1_11reduce_implILb1ES3_PS9_SC_S9_12reduce_tupleIifEEE10hipError_tPvRmT1_T2_T3_mT4_P12ihipStream_tbEUlT_E1_NS1_11comp_targetILNS1_3genE8ELNS1_11target_archE1030ELNS1_3gpuE2ELNS1_3repE0EEENS1_30default_config_static_selectorELNS0_4arch9wavefront6targetE1EEEvSI_,comdat
.Lfunc_end18:
	.size	_ZN7rocprim17ROCPRIM_400000_NS6detail17trampoline_kernelINS0_14default_configENS1_22reduce_config_selectorIN6thrust23THRUST_200600_302600_NS5tupleIbffNS6_9null_typeES8_S8_S8_S8_S8_S8_EEEEZNS1_11reduce_implILb1ES3_PS9_SC_S9_12reduce_tupleIifEEE10hipError_tPvRmT1_T2_T3_mT4_P12ihipStream_tbEUlT_E1_NS1_11comp_targetILNS1_3genE8ELNS1_11target_archE1030ELNS1_3gpuE2ELNS1_3repE0EEENS1_30default_config_static_selectorELNS0_4arch9wavefront6targetE1EEEvSI_, .Lfunc_end18-_ZN7rocprim17ROCPRIM_400000_NS6detail17trampoline_kernelINS0_14default_configENS1_22reduce_config_selectorIN6thrust23THRUST_200600_302600_NS5tupleIbffNS6_9null_typeES8_S8_S8_S8_S8_S8_EEEEZNS1_11reduce_implILb1ES3_PS9_SC_S9_12reduce_tupleIifEEE10hipError_tPvRmT1_T2_T3_mT4_P12ihipStream_tbEUlT_E1_NS1_11comp_targetILNS1_3genE8ELNS1_11target_archE1030ELNS1_3gpuE2ELNS1_3repE0EEENS1_30default_config_static_selectorELNS0_4arch9wavefront6targetE1EEEvSI_
                                        ; -- End function
	.set _ZN7rocprim17ROCPRIM_400000_NS6detail17trampoline_kernelINS0_14default_configENS1_22reduce_config_selectorIN6thrust23THRUST_200600_302600_NS5tupleIbffNS6_9null_typeES8_S8_S8_S8_S8_S8_EEEEZNS1_11reduce_implILb1ES3_PS9_SC_S9_12reduce_tupleIifEEE10hipError_tPvRmT1_T2_T3_mT4_P12ihipStream_tbEUlT_E1_NS1_11comp_targetILNS1_3genE8ELNS1_11target_archE1030ELNS1_3gpuE2ELNS1_3repE0EEENS1_30default_config_static_selectorELNS0_4arch9wavefront6targetE1EEEvSI_.num_vgpr, 0
	.set _ZN7rocprim17ROCPRIM_400000_NS6detail17trampoline_kernelINS0_14default_configENS1_22reduce_config_selectorIN6thrust23THRUST_200600_302600_NS5tupleIbffNS6_9null_typeES8_S8_S8_S8_S8_S8_EEEEZNS1_11reduce_implILb1ES3_PS9_SC_S9_12reduce_tupleIifEEE10hipError_tPvRmT1_T2_T3_mT4_P12ihipStream_tbEUlT_E1_NS1_11comp_targetILNS1_3genE8ELNS1_11target_archE1030ELNS1_3gpuE2ELNS1_3repE0EEENS1_30default_config_static_selectorELNS0_4arch9wavefront6targetE1EEEvSI_.num_agpr, 0
	.set _ZN7rocprim17ROCPRIM_400000_NS6detail17trampoline_kernelINS0_14default_configENS1_22reduce_config_selectorIN6thrust23THRUST_200600_302600_NS5tupleIbffNS6_9null_typeES8_S8_S8_S8_S8_S8_EEEEZNS1_11reduce_implILb1ES3_PS9_SC_S9_12reduce_tupleIifEEE10hipError_tPvRmT1_T2_T3_mT4_P12ihipStream_tbEUlT_E1_NS1_11comp_targetILNS1_3genE8ELNS1_11target_archE1030ELNS1_3gpuE2ELNS1_3repE0EEENS1_30default_config_static_selectorELNS0_4arch9wavefront6targetE1EEEvSI_.numbered_sgpr, 0
	.set _ZN7rocprim17ROCPRIM_400000_NS6detail17trampoline_kernelINS0_14default_configENS1_22reduce_config_selectorIN6thrust23THRUST_200600_302600_NS5tupleIbffNS6_9null_typeES8_S8_S8_S8_S8_S8_EEEEZNS1_11reduce_implILb1ES3_PS9_SC_S9_12reduce_tupleIifEEE10hipError_tPvRmT1_T2_T3_mT4_P12ihipStream_tbEUlT_E1_NS1_11comp_targetILNS1_3genE8ELNS1_11target_archE1030ELNS1_3gpuE2ELNS1_3repE0EEENS1_30default_config_static_selectorELNS0_4arch9wavefront6targetE1EEEvSI_.num_named_barrier, 0
	.set _ZN7rocprim17ROCPRIM_400000_NS6detail17trampoline_kernelINS0_14default_configENS1_22reduce_config_selectorIN6thrust23THRUST_200600_302600_NS5tupleIbffNS6_9null_typeES8_S8_S8_S8_S8_S8_EEEEZNS1_11reduce_implILb1ES3_PS9_SC_S9_12reduce_tupleIifEEE10hipError_tPvRmT1_T2_T3_mT4_P12ihipStream_tbEUlT_E1_NS1_11comp_targetILNS1_3genE8ELNS1_11target_archE1030ELNS1_3gpuE2ELNS1_3repE0EEENS1_30default_config_static_selectorELNS0_4arch9wavefront6targetE1EEEvSI_.private_seg_size, 0
	.set _ZN7rocprim17ROCPRIM_400000_NS6detail17trampoline_kernelINS0_14default_configENS1_22reduce_config_selectorIN6thrust23THRUST_200600_302600_NS5tupleIbffNS6_9null_typeES8_S8_S8_S8_S8_S8_EEEEZNS1_11reduce_implILb1ES3_PS9_SC_S9_12reduce_tupleIifEEE10hipError_tPvRmT1_T2_T3_mT4_P12ihipStream_tbEUlT_E1_NS1_11comp_targetILNS1_3genE8ELNS1_11target_archE1030ELNS1_3gpuE2ELNS1_3repE0EEENS1_30default_config_static_selectorELNS0_4arch9wavefront6targetE1EEEvSI_.uses_vcc, 0
	.set _ZN7rocprim17ROCPRIM_400000_NS6detail17trampoline_kernelINS0_14default_configENS1_22reduce_config_selectorIN6thrust23THRUST_200600_302600_NS5tupleIbffNS6_9null_typeES8_S8_S8_S8_S8_S8_EEEEZNS1_11reduce_implILb1ES3_PS9_SC_S9_12reduce_tupleIifEEE10hipError_tPvRmT1_T2_T3_mT4_P12ihipStream_tbEUlT_E1_NS1_11comp_targetILNS1_3genE8ELNS1_11target_archE1030ELNS1_3gpuE2ELNS1_3repE0EEENS1_30default_config_static_selectorELNS0_4arch9wavefront6targetE1EEEvSI_.uses_flat_scratch, 0
	.set _ZN7rocprim17ROCPRIM_400000_NS6detail17trampoline_kernelINS0_14default_configENS1_22reduce_config_selectorIN6thrust23THRUST_200600_302600_NS5tupleIbffNS6_9null_typeES8_S8_S8_S8_S8_S8_EEEEZNS1_11reduce_implILb1ES3_PS9_SC_S9_12reduce_tupleIifEEE10hipError_tPvRmT1_T2_T3_mT4_P12ihipStream_tbEUlT_E1_NS1_11comp_targetILNS1_3genE8ELNS1_11target_archE1030ELNS1_3gpuE2ELNS1_3repE0EEENS1_30default_config_static_selectorELNS0_4arch9wavefront6targetE1EEEvSI_.has_dyn_sized_stack, 0
	.set _ZN7rocprim17ROCPRIM_400000_NS6detail17trampoline_kernelINS0_14default_configENS1_22reduce_config_selectorIN6thrust23THRUST_200600_302600_NS5tupleIbffNS6_9null_typeES8_S8_S8_S8_S8_S8_EEEEZNS1_11reduce_implILb1ES3_PS9_SC_S9_12reduce_tupleIifEEE10hipError_tPvRmT1_T2_T3_mT4_P12ihipStream_tbEUlT_E1_NS1_11comp_targetILNS1_3genE8ELNS1_11target_archE1030ELNS1_3gpuE2ELNS1_3repE0EEENS1_30default_config_static_selectorELNS0_4arch9wavefront6targetE1EEEvSI_.has_recursion, 0
	.set _ZN7rocprim17ROCPRIM_400000_NS6detail17trampoline_kernelINS0_14default_configENS1_22reduce_config_selectorIN6thrust23THRUST_200600_302600_NS5tupleIbffNS6_9null_typeES8_S8_S8_S8_S8_S8_EEEEZNS1_11reduce_implILb1ES3_PS9_SC_S9_12reduce_tupleIifEEE10hipError_tPvRmT1_T2_T3_mT4_P12ihipStream_tbEUlT_E1_NS1_11comp_targetILNS1_3genE8ELNS1_11target_archE1030ELNS1_3gpuE2ELNS1_3repE0EEENS1_30default_config_static_selectorELNS0_4arch9wavefront6targetE1EEEvSI_.has_indirect_call, 0
	.section	.AMDGPU.csdata,"",@progbits
; Kernel info:
; codeLenInByte = 0
; TotalNumSgprs: 4
; NumVgprs: 0
; ScratchSize: 0
; MemoryBound: 0
; FloatMode: 240
; IeeeMode: 1
; LDSByteSize: 0 bytes/workgroup (compile time only)
; SGPRBlocks: 0
; VGPRBlocks: 0
; NumSGPRsForWavesPerEU: 4
; NumVGPRsForWavesPerEU: 1
; Occupancy: 10
; WaveLimiterHint : 0
; COMPUTE_PGM_RSRC2:SCRATCH_EN: 0
; COMPUTE_PGM_RSRC2:USER_SGPR: 6
; COMPUTE_PGM_RSRC2:TRAP_HANDLER: 0
; COMPUTE_PGM_RSRC2:TGID_X_EN: 1
; COMPUTE_PGM_RSRC2:TGID_Y_EN: 0
; COMPUTE_PGM_RSRC2:TGID_Z_EN: 0
; COMPUTE_PGM_RSRC2:TIDIG_COMP_CNT: 0
	.section	.text._ZN7rocprim17ROCPRIM_400000_NS6detail17trampoline_kernelINS0_14default_configENS1_22reduce_config_selectorIN6thrust23THRUST_200600_302600_NS5tupleIbffNS6_9null_typeES8_S8_S8_S8_S8_S8_EEEEZNS1_11reduce_implILb1ES3_NS6_11hip_rocprim26transform_input_iterator_tIS9_NS6_12zip_iteratorINS7_INS6_17counting_iteratorIiNS6_11use_defaultESG_SG_EENS6_6detail15normal_iteratorINS6_10device_ptrIfEEEES8_S8_S8_S8_S8_S8_S8_S8_EEEE15transform_tupleIifEEEPS9_S9_12reduce_tupleIifEEE10hipError_tPvRmT1_T2_T3_mT4_P12ihipStream_tbEUlT_E0_NS1_11comp_targetILNS1_3genE0ELNS1_11target_archE4294967295ELNS1_3gpuE0ELNS1_3repE0EEENS1_30default_config_static_selectorELNS0_4arch9wavefront6targetE1EEEvSY_,"axG",@progbits,_ZN7rocprim17ROCPRIM_400000_NS6detail17trampoline_kernelINS0_14default_configENS1_22reduce_config_selectorIN6thrust23THRUST_200600_302600_NS5tupleIbffNS6_9null_typeES8_S8_S8_S8_S8_S8_EEEEZNS1_11reduce_implILb1ES3_NS6_11hip_rocprim26transform_input_iterator_tIS9_NS6_12zip_iteratorINS7_INS6_17counting_iteratorIiNS6_11use_defaultESG_SG_EENS6_6detail15normal_iteratorINS6_10device_ptrIfEEEES8_S8_S8_S8_S8_S8_S8_S8_EEEE15transform_tupleIifEEEPS9_S9_12reduce_tupleIifEEE10hipError_tPvRmT1_T2_T3_mT4_P12ihipStream_tbEUlT_E0_NS1_11comp_targetILNS1_3genE0ELNS1_11target_archE4294967295ELNS1_3gpuE0ELNS1_3repE0EEENS1_30default_config_static_selectorELNS0_4arch9wavefront6targetE1EEEvSY_,comdat
	.protected	_ZN7rocprim17ROCPRIM_400000_NS6detail17trampoline_kernelINS0_14default_configENS1_22reduce_config_selectorIN6thrust23THRUST_200600_302600_NS5tupleIbffNS6_9null_typeES8_S8_S8_S8_S8_S8_EEEEZNS1_11reduce_implILb1ES3_NS6_11hip_rocprim26transform_input_iterator_tIS9_NS6_12zip_iteratorINS7_INS6_17counting_iteratorIiNS6_11use_defaultESG_SG_EENS6_6detail15normal_iteratorINS6_10device_ptrIfEEEES8_S8_S8_S8_S8_S8_S8_S8_EEEE15transform_tupleIifEEEPS9_S9_12reduce_tupleIifEEE10hipError_tPvRmT1_T2_T3_mT4_P12ihipStream_tbEUlT_E0_NS1_11comp_targetILNS1_3genE0ELNS1_11target_archE4294967295ELNS1_3gpuE0ELNS1_3repE0EEENS1_30default_config_static_selectorELNS0_4arch9wavefront6targetE1EEEvSY_ ; -- Begin function _ZN7rocprim17ROCPRIM_400000_NS6detail17trampoline_kernelINS0_14default_configENS1_22reduce_config_selectorIN6thrust23THRUST_200600_302600_NS5tupleIbffNS6_9null_typeES8_S8_S8_S8_S8_S8_EEEEZNS1_11reduce_implILb1ES3_NS6_11hip_rocprim26transform_input_iterator_tIS9_NS6_12zip_iteratorINS7_INS6_17counting_iteratorIiNS6_11use_defaultESG_SG_EENS6_6detail15normal_iteratorINS6_10device_ptrIfEEEES8_S8_S8_S8_S8_S8_S8_S8_EEEE15transform_tupleIifEEEPS9_S9_12reduce_tupleIifEEE10hipError_tPvRmT1_T2_T3_mT4_P12ihipStream_tbEUlT_E0_NS1_11comp_targetILNS1_3genE0ELNS1_11target_archE4294967295ELNS1_3gpuE0ELNS1_3repE0EEENS1_30default_config_static_selectorELNS0_4arch9wavefront6targetE1EEEvSY_
	.globl	_ZN7rocprim17ROCPRIM_400000_NS6detail17trampoline_kernelINS0_14default_configENS1_22reduce_config_selectorIN6thrust23THRUST_200600_302600_NS5tupleIbffNS6_9null_typeES8_S8_S8_S8_S8_S8_EEEEZNS1_11reduce_implILb1ES3_NS6_11hip_rocprim26transform_input_iterator_tIS9_NS6_12zip_iteratorINS7_INS6_17counting_iteratorIiNS6_11use_defaultESG_SG_EENS6_6detail15normal_iteratorINS6_10device_ptrIfEEEES8_S8_S8_S8_S8_S8_S8_S8_EEEE15transform_tupleIifEEEPS9_S9_12reduce_tupleIifEEE10hipError_tPvRmT1_T2_T3_mT4_P12ihipStream_tbEUlT_E0_NS1_11comp_targetILNS1_3genE0ELNS1_11target_archE4294967295ELNS1_3gpuE0ELNS1_3repE0EEENS1_30default_config_static_selectorELNS0_4arch9wavefront6targetE1EEEvSY_
	.p2align	8
	.type	_ZN7rocprim17ROCPRIM_400000_NS6detail17trampoline_kernelINS0_14default_configENS1_22reduce_config_selectorIN6thrust23THRUST_200600_302600_NS5tupleIbffNS6_9null_typeES8_S8_S8_S8_S8_S8_EEEEZNS1_11reduce_implILb1ES3_NS6_11hip_rocprim26transform_input_iterator_tIS9_NS6_12zip_iteratorINS7_INS6_17counting_iteratorIiNS6_11use_defaultESG_SG_EENS6_6detail15normal_iteratorINS6_10device_ptrIfEEEES8_S8_S8_S8_S8_S8_S8_S8_EEEE15transform_tupleIifEEEPS9_S9_12reduce_tupleIifEEE10hipError_tPvRmT1_T2_T3_mT4_P12ihipStream_tbEUlT_E0_NS1_11comp_targetILNS1_3genE0ELNS1_11target_archE4294967295ELNS1_3gpuE0ELNS1_3repE0EEENS1_30default_config_static_selectorELNS0_4arch9wavefront6targetE1EEEvSY_,@function
_ZN7rocprim17ROCPRIM_400000_NS6detail17trampoline_kernelINS0_14default_configENS1_22reduce_config_selectorIN6thrust23THRUST_200600_302600_NS5tupleIbffNS6_9null_typeES8_S8_S8_S8_S8_S8_EEEEZNS1_11reduce_implILb1ES3_NS6_11hip_rocprim26transform_input_iterator_tIS9_NS6_12zip_iteratorINS7_INS6_17counting_iteratorIiNS6_11use_defaultESG_SG_EENS6_6detail15normal_iteratorINS6_10device_ptrIfEEEES8_S8_S8_S8_S8_S8_S8_S8_EEEE15transform_tupleIifEEEPS9_S9_12reduce_tupleIifEEE10hipError_tPvRmT1_T2_T3_mT4_P12ihipStream_tbEUlT_E0_NS1_11comp_targetILNS1_3genE0ELNS1_11target_archE4294967295ELNS1_3gpuE0ELNS1_3repE0EEENS1_30default_config_static_selectorELNS0_4arch9wavefront6targetE1EEEvSY_: ; @_ZN7rocprim17ROCPRIM_400000_NS6detail17trampoline_kernelINS0_14default_configENS1_22reduce_config_selectorIN6thrust23THRUST_200600_302600_NS5tupleIbffNS6_9null_typeES8_S8_S8_S8_S8_S8_EEEEZNS1_11reduce_implILb1ES3_NS6_11hip_rocprim26transform_input_iterator_tIS9_NS6_12zip_iteratorINS7_INS6_17counting_iteratorIiNS6_11use_defaultESG_SG_EENS6_6detail15normal_iteratorINS6_10device_ptrIfEEEES8_S8_S8_S8_S8_S8_S8_S8_EEEE15transform_tupleIifEEEPS9_S9_12reduce_tupleIifEEE10hipError_tPvRmT1_T2_T3_mT4_P12ihipStream_tbEUlT_E0_NS1_11comp_targetILNS1_3genE0ELNS1_11target_archE4294967295ELNS1_3gpuE0ELNS1_3repE0EEENS1_30default_config_static_selectorELNS0_4arch9wavefront6targetE1EEEvSY_
; %bb.0:
	.section	.rodata,"a",@progbits
	.p2align	6, 0x0
	.amdhsa_kernel _ZN7rocprim17ROCPRIM_400000_NS6detail17trampoline_kernelINS0_14default_configENS1_22reduce_config_selectorIN6thrust23THRUST_200600_302600_NS5tupleIbffNS6_9null_typeES8_S8_S8_S8_S8_S8_EEEEZNS1_11reduce_implILb1ES3_NS6_11hip_rocprim26transform_input_iterator_tIS9_NS6_12zip_iteratorINS7_INS6_17counting_iteratorIiNS6_11use_defaultESG_SG_EENS6_6detail15normal_iteratorINS6_10device_ptrIfEEEES8_S8_S8_S8_S8_S8_S8_S8_EEEE15transform_tupleIifEEEPS9_S9_12reduce_tupleIifEEE10hipError_tPvRmT1_T2_T3_mT4_P12ihipStream_tbEUlT_E0_NS1_11comp_targetILNS1_3genE0ELNS1_11target_archE4294967295ELNS1_3gpuE0ELNS1_3repE0EEENS1_30default_config_static_selectorELNS0_4arch9wavefront6targetE1EEEvSY_
		.amdhsa_group_segment_fixed_size 0
		.amdhsa_private_segment_fixed_size 0
		.amdhsa_kernarg_size 80
		.amdhsa_user_sgpr_count 6
		.amdhsa_user_sgpr_private_segment_buffer 1
		.amdhsa_user_sgpr_dispatch_ptr 0
		.amdhsa_user_sgpr_queue_ptr 0
		.amdhsa_user_sgpr_kernarg_segment_ptr 1
		.amdhsa_user_sgpr_dispatch_id 0
		.amdhsa_user_sgpr_flat_scratch_init 0
		.amdhsa_user_sgpr_private_segment_size 0
		.amdhsa_uses_dynamic_stack 0
		.amdhsa_system_sgpr_private_segment_wavefront_offset 0
		.amdhsa_system_sgpr_workgroup_id_x 1
		.amdhsa_system_sgpr_workgroup_id_y 0
		.amdhsa_system_sgpr_workgroup_id_z 0
		.amdhsa_system_sgpr_workgroup_info 0
		.amdhsa_system_vgpr_workitem_id 0
		.amdhsa_next_free_vgpr 1
		.amdhsa_next_free_sgpr 0
		.amdhsa_reserve_vcc 0
		.amdhsa_reserve_flat_scratch 0
		.amdhsa_float_round_mode_32 0
		.amdhsa_float_round_mode_16_64 0
		.amdhsa_float_denorm_mode_32 3
		.amdhsa_float_denorm_mode_16_64 3
		.amdhsa_dx10_clamp 1
		.amdhsa_ieee_mode 1
		.amdhsa_fp16_overflow 0
		.amdhsa_exception_fp_ieee_invalid_op 0
		.amdhsa_exception_fp_denorm_src 0
		.amdhsa_exception_fp_ieee_div_zero 0
		.amdhsa_exception_fp_ieee_overflow 0
		.amdhsa_exception_fp_ieee_underflow 0
		.amdhsa_exception_fp_ieee_inexact 0
		.amdhsa_exception_int_div_zero 0
	.end_amdhsa_kernel
	.section	.text._ZN7rocprim17ROCPRIM_400000_NS6detail17trampoline_kernelINS0_14default_configENS1_22reduce_config_selectorIN6thrust23THRUST_200600_302600_NS5tupleIbffNS6_9null_typeES8_S8_S8_S8_S8_S8_EEEEZNS1_11reduce_implILb1ES3_NS6_11hip_rocprim26transform_input_iterator_tIS9_NS6_12zip_iteratorINS7_INS6_17counting_iteratorIiNS6_11use_defaultESG_SG_EENS6_6detail15normal_iteratorINS6_10device_ptrIfEEEES8_S8_S8_S8_S8_S8_S8_S8_EEEE15transform_tupleIifEEEPS9_S9_12reduce_tupleIifEEE10hipError_tPvRmT1_T2_T3_mT4_P12ihipStream_tbEUlT_E0_NS1_11comp_targetILNS1_3genE0ELNS1_11target_archE4294967295ELNS1_3gpuE0ELNS1_3repE0EEENS1_30default_config_static_selectorELNS0_4arch9wavefront6targetE1EEEvSY_,"axG",@progbits,_ZN7rocprim17ROCPRIM_400000_NS6detail17trampoline_kernelINS0_14default_configENS1_22reduce_config_selectorIN6thrust23THRUST_200600_302600_NS5tupleIbffNS6_9null_typeES8_S8_S8_S8_S8_S8_EEEEZNS1_11reduce_implILb1ES3_NS6_11hip_rocprim26transform_input_iterator_tIS9_NS6_12zip_iteratorINS7_INS6_17counting_iteratorIiNS6_11use_defaultESG_SG_EENS6_6detail15normal_iteratorINS6_10device_ptrIfEEEES8_S8_S8_S8_S8_S8_S8_S8_EEEE15transform_tupleIifEEEPS9_S9_12reduce_tupleIifEEE10hipError_tPvRmT1_T2_T3_mT4_P12ihipStream_tbEUlT_E0_NS1_11comp_targetILNS1_3genE0ELNS1_11target_archE4294967295ELNS1_3gpuE0ELNS1_3repE0EEENS1_30default_config_static_selectorELNS0_4arch9wavefront6targetE1EEEvSY_,comdat
.Lfunc_end19:
	.size	_ZN7rocprim17ROCPRIM_400000_NS6detail17trampoline_kernelINS0_14default_configENS1_22reduce_config_selectorIN6thrust23THRUST_200600_302600_NS5tupleIbffNS6_9null_typeES8_S8_S8_S8_S8_S8_EEEEZNS1_11reduce_implILb1ES3_NS6_11hip_rocprim26transform_input_iterator_tIS9_NS6_12zip_iteratorINS7_INS6_17counting_iteratorIiNS6_11use_defaultESG_SG_EENS6_6detail15normal_iteratorINS6_10device_ptrIfEEEES8_S8_S8_S8_S8_S8_S8_S8_EEEE15transform_tupleIifEEEPS9_S9_12reduce_tupleIifEEE10hipError_tPvRmT1_T2_T3_mT4_P12ihipStream_tbEUlT_E0_NS1_11comp_targetILNS1_3genE0ELNS1_11target_archE4294967295ELNS1_3gpuE0ELNS1_3repE0EEENS1_30default_config_static_selectorELNS0_4arch9wavefront6targetE1EEEvSY_, .Lfunc_end19-_ZN7rocprim17ROCPRIM_400000_NS6detail17trampoline_kernelINS0_14default_configENS1_22reduce_config_selectorIN6thrust23THRUST_200600_302600_NS5tupleIbffNS6_9null_typeES8_S8_S8_S8_S8_S8_EEEEZNS1_11reduce_implILb1ES3_NS6_11hip_rocprim26transform_input_iterator_tIS9_NS6_12zip_iteratorINS7_INS6_17counting_iteratorIiNS6_11use_defaultESG_SG_EENS6_6detail15normal_iteratorINS6_10device_ptrIfEEEES8_S8_S8_S8_S8_S8_S8_S8_EEEE15transform_tupleIifEEEPS9_S9_12reduce_tupleIifEEE10hipError_tPvRmT1_T2_T3_mT4_P12ihipStream_tbEUlT_E0_NS1_11comp_targetILNS1_3genE0ELNS1_11target_archE4294967295ELNS1_3gpuE0ELNS1_3repE0EEENS1_30default_config_static_selectorELNS0_4arch9wavefront6targetE1EEEvSY_
                                        ; -- End function
	.set _ZN7rocprim17ROCPRIM_400000_NS6detail17trampoline_kernelINS0_14default_configENS1_22reduce_config_selectorIN6thrust23THRUST_200600_302600_NS5tupleIbffNS6_9null_typeES8_S8_S8_S8_S8_S8_EEEEZNS1_11reduce_implILb1ES3_NS6_11hip_rocprim26transform_input_iterator_tIS9_NS6_12zip_iteratorINS7_INS6_17counting_iteratorIiNS6_11use_defaultESG_SG_EENS6_6detail15normal_iteratorINS6_10device_ptrIfEEEES8_S8_S8_S8_S8_S8_S8_S8_EEEE15transform_tupleIifEEEPS9_S9_12reduce_tupleIifEEE10hipError_tPvRmT1_T2_T3_mT4_P12ihipStream_tbEUlT_E0_NS1_11comp_targetILNS1_3genE0ELNS1_11target_archE4294967295ELNS1_3gpuE0ELNS1_3repE0EEENS1_30default_config_static_selectorELNS0_4arch9wavefront6targetE1EEEvSY_.num_vgpr, 0
	.set _ZN7rocprim17ROCPRIM_400000_NS6detail17trampoline_kernelINS0_14default_configENS1_22reduce_config_selectorIN6thrust23THRUST_200600_302600_NS5tupleIbffNS6_9null_typeES8_S8_S8_S8_S8_S8_EEEEZNS1_11reduce_implILb1ES3_NS6_11hip_rocprim26transform_input_iterator_tIS9_NS6_12zip_iteratorINS7_INS6_17counting_iteratorIiNS6_11use_defaultESG_SG_EENS6_6detail15normal_iteratorINS6_10device_ptrIfEEEES8_S8_S8_S8_S8_S8_S8_S8_EEEE15transform_tupleIifEEEPS9_S9_12reduce_tupleIifEEE10hipError_tPvRmT1_T2_T3_mT4_P12ihipStream_tbEUlT_E0_NS1_11comp_targetILNS1_3genE0ELNS1_11target_archE4294967295ELNS1_3gpuE0ELNS1_3repE0EEENS1_30default_config_static_selectorELNS0_4arch9wavefront6targetE1EEEvSY_.num_agpr, 0
	.set _ZN7rocprim17ROCPRIM_400000_NS6detail17trampoline_kernelINS0_14default_configENS1_22reduce_config_selectorIN6thrust23THRUST_200600_302600_NS5tupleIbffNS6_9null_typeES8_S8_S8_S8_S8_S8_EEEEZNS1_11reduce_implILb1ES3_NS6_11hip_rocprim26transform_input_iterator_tIS9_NS6_12zip_iteratorINS7_INS6_17counting_iteratorIiNS6_11use_defaultESG_SG_EENS6_6detail15normal_iteratorINS6_10device_ptrIfEEEES8_S8_S8_S8_S8_S8_S8_S8_EEEE15transform_tupleIifEEEPS9_S9_12reduce_tupleIifEEE10hipError_tPvRmT1_T2_T3_mT4_P12ihipStream_tbEUlT_E0_NS1_11comp_targetILNS1_3genE0ELNS1_11target_archE4294967295ELNS1_3gpuE0ELNS1_3repE0EEENS1_30default_config_static_selectorELNS0_4arch9wavefront6targetE1EEEvSY_.numbered_sgpr, 0
	.set _ZN7rocprim17ROCPRIM_400000_NS6detail17trampoline_kernelINS0_14default_configENS1_22reduce_config_selectorIN6thrust23THRUST_200600_302600_NS5tupleIbffNS6_9null_typeES8_S8_S8_S8_S8_S8_EEEEZNS1_11reduce_implILb1ES3_NS6_11hip_rocprim26transform_input_iterator_tIS9_NS6_12zip_iteratorINS7_INS6_17counting_iteratorIiNS6_11use_defaultESG_SG_EENS6_6detail15normal_iteratorINS6_10device_ptrIfEEEES8_S8_S8_S8_S8_S8_S8_S8_EEEE15transform_tupleIifEEEPS9_S9_12reduce_tupleIifEEE10hipError_tPvRmT1_T2_T3_mT4_P12ihipStream_tbEUlT_E0_NS1_11comp_targetILNS1_3genE0ELNS1_11target_archE4294967295ELNS1_3gpuE0ELNS1_3repE0EEENS1_30default_config_static_selectorELNS0_4arch9wavefront6targetE1EEEvSY_.num_named_barrier, 0
	.set _ZN7rocprim17ROCPRIM_400000_NS6detail17trampoline_kernelINS0_14default_configENS1_22reduce_config_selectorIN6thrust23THRUST_200600_302600_NS5tupleIbffNS6_9null_typeES8_S8_S8_S8_S8_S8_EEEEZNS1_11reduce_implILb1ES3_NS6_11hip_rocprim26transform_input_iterator_tIS9_NS6_12zip_iteratorINS7_INS6_17counting_iteratorIiNS6_11use_defaultESG_SG_EENS6_6detail15normal_iteratorINS6_10device_ptrIfEEEES8_S8_S8_S8_S8_S8_S8_S8_EEEE15transform_tupleIifEEEPS9_S9_12reduce_tupleIifEEE10hipError_tPvRmT1_T2_T3_mT4_P12ihipStream_tbEUlT_E0_NS1_11comp_targetILNS1_3genE0ELNS1_11target_archE4294967295ELNS1_3gpuE0ELNS1_3repE0EEENS1_30default_config_static_selectorELNS0_4arch9wavefront6targetE1EEEvSY_.private_seg_size, 0
	.set _ZN7rocprim17ROCPRIM_400000_NS6detail17trampoline_kernelINS0_14default_configENS1_22reduce_config_selectorIN6thrust23THRUST_200600_302600_NS5tupleIbffNS6_9null_typeES8_S8_S8_S8_S8_S8_EEEEZNS1_11reduce_implILb1ES3_NS6_11hip_rocprim26transform_input_iterator_tIS9_NS6_12zip_iteratorINS7_INS6_17counting_iteratorIiNS6_11use_defaultESG_SG_EENS6_6detail15normal_iteratorINS6_10device_ptrIfEEEES8_S8_S8_S8_S8_S8_S8_S8_EEEE15transform_tupleIifEEEPS9_S9_12reduce_tupleIifEEE10hipError_tPvRmT1_T2_T3_mT4_P12ihipStream_tbEUlT_E0_NS1_11comp_targetILNS1_3genE0ELNS1_11target_archE4294967295ELNS1_3gpuE0ELNS1_3repE0EEENS1_30default_config_static_selectorELNS0_4arch9wavefront6targetE1EEEvSY_.uses_vcc, 0
	.set _ZN7rocprim17ROCPRIM_400000_NS6detail17trampoline_kernelINS0_14default_configENS1_22reduce_config_selectorIN6thrust23THRUST_200600_302600_NS5tupleIbffNS6_9null_typeES8_S8_S8_S8_S8_S8_EEEEZNS1_11reduce_implILb1ES3_NS6_11hip_rocprim26transform_input_iterator_tIS9_NS6_12zip_iteratorINS7_INS6_17counting_iteratorIiNS6_11use_defaultESG_SG_EENS6_6detail15normal_iteratorINS6_10device_ptrIfEEEES8_S8_S8_S8_S8_S8_S8_S8_EEEE15transform_tupleIifEEEPS9_S9_12reduce_tupleIifEEE10hipError_tPvRmT1_T2_T3_mT4_P12ihipStream_tbEUlT_E0_NS1_11comp_targetILNS1_3genE0ELNS1_11target_archE4294967295ELNS1_3gpuE0ELNS1_3repE0EEENS1_30default_config_static_selectorELNS0_4arch9wavefront6targetE1EEEvSY_.uses_flat_scratch, 0
	.set _ZN7rocprim17ROCPRIM_400000_NS6detail17trampoline_kernelINS0_14default_configENS1_22reduce_config_selectorIN6thrust23THRUST_200600_302600_NS5tupleIbffNS6_9null_typeES8_S8_S8_S8_S8_S8_EEEEZNS1_11reduce_implILb1ES3_NS6_11hip_rocprim26transform_input_iterator_tIS9_NS6_12zip_iteratorINS7_INS6_17counting_iteratorIiNS6_11use_defaultESG_SG_EENS6_6detail15normal_iteratorINS6_10device_ptrIfEEEES8_S8_S8_S8_S8_S8_S8_S8_EEEE15transform_tupleIifEEEPS9_S9_12reduce_tupleIifEEE10hipError_tPvRmT1_T2_T3_mT4_P12ihipStream_tbEUlT_E0_NS1_11comp_targetILNS1_3genE0ELNS1_11target_archE4294967295ELNS1_3gpuE0ELNS1_3repE0EEENS1_30default_config_static_selectorELNS0_4arch9wavefront6targetE1EEEvSY_.has_dyn_sized_stack, 0
	.set _ZN7rocprim17ROCPRIM_400000_NS6detail17trampoline_kernelINS0_14default_configENS1_22reduce_config_selectorIN6thrust23THRUST_200600_302600_NS5tupleIbffNS6_9null_typeES8_S8_S8_S8_S8_S8_EEEEZNS1_11reduce_implILb1ES3_NS6_11hip_rocprim26transform_input_iterator_tIS9_NS6_12zip_iteratorINS7_INS6_17counting_iteratorIiNS6_11use_defaultESG_SG_EENS6_6detail15normal_iteratorINS6_10device_ptrIfEEEES8_S8_S8_S8_S8_S8_S8_S8_EEEE15transform_tupleIifEEEPS9_S9_12reduce_tupleIifEEE10hipError_tPvRmT1_T2_T3_mT4_P12ihipStream_tbEUlT_E0_NS1_11comp_targetILNS1_3genE0ELNS1_11target_archE4294967295ELNS1_3gpuE0ELNS1_3repE0EEENS1_30default_config_static_selectorELNS0_4arch9wavefront6targetE1EEEvSY_.has_recursion, 0
	.set _ZN7rocprim17ROCPRIM_400000_NS6detail17trampoline_kernelINS0_14default_configENS1_22reduce_config_selectorIN6thrust23THRUST_200600_302600_NS5tupleIbffNS6_9null_typeES8_S8_S8_S8_S8_S8_EEEEZNS1_11reduce_implILb1ES3_NS6_11hip_rocprim26transform_input_iterator_tIS9_NS6_12zip_iteratorINS7_INS6_17counting_iteratorIiNS6_11use_defaultESG_SG_EENS6_6detail15normal_iteratorINS6_10device_ptrIfEEEES8_S8_S8_S8_S8_S8_S8_S8_EEEE15transform_tupleIifEEEPS9_S9_12reduce_tupleIifEEE10hipError_tPvRmT1_T2_T3_mT4_P12ihipStream_tbEUlT_E0_NS1_11comp_targetILNS1_3genE0ELNS1_11target_archE4294967295ELNS1_3gpuE0ELNS1_3repE0EEENS1_30default_config_static_selectorELNS0_4arch9wavefront6targetE1EEEvSY_.has_indirect_call, 0
	.section	.AMDGPU.csdata,"",@progbits
; Kernel info:
; codeLenInByte = 0
; TotalNumSgprs: 4
; NumVgprs: 0
; ScratchSize: 0
; MemoryBound: 0
; FloatMode: 240
; IeeeMode: 1
; LDSByteSize: 0 bytes/workgroup (compile time only)
; SGPRBlocks: 0
; VGPRBlocks: 0
; NumSGPRsForWavesPerEU: 4
; NumVGPRsForWavesPerEU: 1
; Occupancy: 10
; WaveLimiterHint : 0
; COMPUTE_PGM_RSRC2:SCRATCH_EN: 0
; COMPUTE_PGM_RSRC2:USER_SGPR: 6
; COMPUTE_PGM_RSRC2:TRAP_HANDLER: 0
; COMPUTE_PGM_RSRC2:TGID_X_EN: 1
; COMPUTE_PGM_RSRC2:TGID_Y_EN: 0
; COMPUTE_PGM_RSRC2:TGID_Z_EN: 0
; COMPUTE_PGM_RSRC2:TIDIG_COMP_CNT: 0
	.section	.text._ZN7rocprim17ROCPRIM_400000_NS6detail17trampoline_kernelINS0_14default_configENS1_22reduce_config_selectorIN6thrust23THRUST_200600_302600_NS5tupleIbffNS6_9null_typeES8_S8_S8_S8_S8_S8_EEEEZNS1_11reduce_implILb1ES3_NS6_11hip_rocprim26transform_input_iterator_tIS9_NS6_12zip_iteratorINS7_INS6_17counting_iteratorIiNS6_11use_defaultESG_SG_EENS6_6detail15normal_iteratorINS6_10device_ptrIfEEEES8_S8_S8_S8_S8_S8_S8_S8_EEEE15transform_tupleIifEEEPS9_S9_12reduce_tupleIifEEE10hipError_tPvRmT1_T2_T3_mT4_P12ihipStream_tbEUlT_E0_NS1_11comp_targetILNS1_3genE5ELNS1_11target_archE942ELNS1_3gpuE9ELNS1_3repE0EEENS1_30default_config_static_selectorELNS0_4arch9wavefront6targetE1EEEvSY_,"axG",@progbits,_ZN7rocprim17ROCPRIM_400000_NS6detail17trampoline_kernelINS0_14default_configENS1_22reduce_config_selectorIN6thrust23THRUST_200600_302600_NS5tupleIbffNS6_9null_typeES8_S8_S8_S8_S8_S8_EEEEZNS1_11reduce_implILb1ES3_NS6_11hip_rocprim26transform_input_iterator_tIS9_NS6_12zip_iteratorINS7_INS6_17counting_iteratorIiNS6_11use_defaultESG_SG_EENS6_6detail15normal_iteratorINS6_10device_ptrIfEEEES8_S8_S8_S8_S8_S8_S8_S8_EEEE15transform_tupleIifEEEPS9_S9_12reduce_tupleIifEEE10hipError_tPvRmT1_T2_T3_mT4_P12ihipStream_tbEUlT_E0_NS1_11comp_targetILNS1_3genE5ELNS1_11target_archE942ELNS1_3gpuE9ELNS1_3repE0EEENS1_30default_config_static_selectorELNS0_4arch9wavefront6targetE1EEEvSY_,comdat
	.protected	_ZN7rocprim17ROCPRIM_400000_NS6detail17trampoline_kernelINS0_14default_configENS1_22reduce_config_selectorIN6thrust23THRUST_200600_302600_NS5tupleIbffNS6_9null_typeES8_S8_S8_S8_S8_S8_EEEEZNS1_11reduce_implILb1ES3_NS6_11hip_rocprim26transform_input_iterator_tIS9_NS6_12zip_iteratorINS7_INS6_17counting_iteratorIiNS6_11use_defaultESG_SG_EENS6_6detail15normal_iteratorINS6_10device_ptrIfEEEES8_S8_S8_S8_S8_S8_S8_S8_EEEE15transform_tupleIifEEEPS9_S9_12reduce_tupleIifEEE10hipError_tPvRmT1_T2_T3_mT4_P12ihipStream_tbEUlT_E0_NS1_11comp_targetILNS1_3genE5ELNS1_11target_archE942ELNS1_3gpuE9ELNS1_3repE0EEENS1_30default_config_static_selectorELNS0_4arch9wavefront6targetE1EEEvSY_ ; -- Begin function _ZN7rocprim17ROCPRIM_400000_NS6detail17trampoline_kernelINS0_14default_configENS1_22reduce_config_selectorIN6thrust23THRUST_200600_302600_NS5tupleIbffNS6_9null_typeES8_S8_S8_S8_S8_S8_EEEEZNS1_11reduce_implILb1ES3_NS6_11hip_rocprim26transform_input_iterator_tIS9_NS6_12zip_iteratorINS7_INS6_17counting_iteratorIiNS6_11use_defaultESG_SG_EENS6_6detail15normal_iteratorINS6_10device_ptrIfEEEES8_S8_S8_S8_S8_S8_S8_S8_EEEE15transform_tupleIifEEEPS9_S9_12reduce_tupleIifEEE10hipError_tPvRmT1_T2_T3_mT4_P12ihipStream_tbEUlT_E0_NS1_11comp_targetILNS1_3genE5ELNS1_11target_archE942ELNS1_3gpuE9ELNS1_3repE0EEENS1_30default_config_static_selectorELNS0_4arch9wavefront6targetE1EEEvSY_
	.globl	_ZN7rocprim17ROCPRIM_400000_NS6detail17trampoline_kernelINS0_14default_configENS1_22reduce_config_selectorIN6thrust23THRUST_200600_302600_NS5tupleIbffNS6_9null_typeES8_S8_S8_S8_S8_S8_EEEEZNS1_11reduce_implILb1ES3_NS6_11hip_rocprim26transform_input_iterator_tIS9_NS6_12zip_iteratorINS7_INS6_17counting_iteratorIiNS6_11use_defaultESG_SG_EENS6_6detail15normal_iteratorINS6_10device_ptrIfEEEES8_S8_S8_S8_S8_S8_S8_S8_EEEE15transform_tupleIifEEEPS9_S9_12reduce_tupleIifEEE10hipError_tPvRmT1_T2_T3_mT4_P12ihipStream_tbEUlT_E0_NS1_11comp_targetILNS1_3genE5ELNS1_11target_archE942ELNS1_3gpuE9ELNS1_3repE0EEENS1_30default_config_static_selectorELNS0_4arch9wavefront6targetE1EEEvSY_
	.p2align	8
	.type	_ZN7rocprim17ROCPRIM_400000_NS6detail17trampoline_kernelINS0_14default_configENS1_22reduce_config_selectorIN6thrust23THRUST_200600_302600_NS5tupleIbffNS6_9null_typeES8_S8_S8_S8_S8_S8_EEEEZNS1_11reduce_implILb1ES3_NS6_11hip_rocprim26transform_input_iterator_tIS9_NS6_12zip_iteratorINS7_INS6_17counting_iteratorIiNS6_11use_defaultESG_SG_EENS6_6detail15normal_iteratorINS6_10device_ptrIfEEEES8_S8_S8_S8_S8_S8_S8_S8_EEEE15transform_tupleIifEEEPS9_S9_12reduce_tupleIifEEE10hipError_tPvRmT1_T2_T3_mT4_P12ihipStream_tbEUlT_E0_NS1_11comp_targetILNS1_3genE5ELNS1_11target_archE942ELNS1_3gpuE9ELNS1_3repE0EEENS1_30default_config_static_selectorELNS0_4arch9wavefront6targetE1EEEvSY_,@function
_ZN7rocprim17ROCPRIM_400000_NS6detail17trampoline_kernelINS0_14default_configENS1_22reduce_config_selectorIN6thrust23THRUST_200600_302600_NS5tupleIbffNS6_9null_typeES8_S8_S8_S8_S8_S8_EEEEZNS1_11reduce_implILb1ES3_NS6_11hip_rocprim26transform_input_iterator_tIS9_NS6_12zip_iteratorINS7_INS6_17counting_iteratorIiNS6_11use_defaultESG_SG_EENS6_6detail15normal_iteratorINS6_10device_ptrIfEEEES8_S8_S8_S8_S8_S8_S8_S8_EEEE15transform_tupleIifEEEPS9_S9_12reduce_tupleIifEEE10hipError_tPvRmT1_T2_T3_mT4_P12ihipStream_tbEUlT_E0_NS1_11comp_targetILNS1_3genE5ELNS1_11target_archE942ELNS1_3gpuE9ELNS1_3repE0EEENS1_30default_config_static_selectorELNS0_4arch9wavefront6targetE1EEEvSY_: ; @_ZN7rocprim17ROCPRIM_400000_NS6detail17trampoline_kernelINS0_14default_configENS1_22reduce_config_selectorIN6thrust23THRUST_200600_302600_NS5tupleIbffNS6_9null_typeES8_S8_S8_S8_S8_S8_EEEEZNS1_11reduce_implILb1ES3_NS6_11hip_rocprim26transform_input_iterator_tIS9_NS6_12zip_iteratorINS7_INS6_17counting_iteratorIiNS6_11use_defaultESG_SG_EENS6_6detail15normal_iteratorINS6_10device_ptrIfEEEES8_S8_S8_S8_S8_S8_S8_S8_EEEE15transform_tupleIifEEEPS9_S9_12reduce_tupleIifEEE10hipError_tPvRmT1_T2_T3_mT4_P12ihipStream_tbEUlT_E0_NS1_11comp_targetILNS1_3genE5ELNS1_11target_archE942ELNS1_3gpuE9ELNS1_3repE0EEENS1_30default_config_static_selectorELNS0_4arch9wavefront6targetE1EEEvSY_
; %bb.0:
	.section	.rodata,"a",@progbits
	.p2align	6, 0x0
	.amdhsa_kernel _ZN7rocprim17ROCPRIM_400000_NS6detail17trampoline_kernelINS0_14default_configENS1_22reduce_config_selectorIN6thrust23THRUST_200600_302600_NS5tupleIbffNS6_9null_typeES8_S8_S8_S8_S8_S8_EEEEZNS1_11reduce_implILb1ES3_NS6_11hip_rocprim26transform_input_iterator_tIS9_NS6_12zip_iteratorINS7_INS6_17counting_iteratorIiNS6_11use_defaultESG_SG_EENS6_6detail15normal_iteratorINS6_10device_ptrIfEEEES8_S8_S8_S8_S8_S8_S8_S8_EEEE15transform_tupleIifEEEPS9_S9_12reduce_tupleIifEEE10hipError_tPvRmT1_T2_T3_mT4_P12ihipStream_tbEUlT_E0_NS1_11comp_targetILNS1_3genE5ELNS1_11target_archE942ELNS1_3gpuE9ELNS1_3repE0EEENS1_30default_config_static_selectorELNS0_4arch9wavefront6targetE1EEEvSY_
		.amdhsa_group_segment_fixed_size 0
		.amdhsa_private_segment_fixed_size 0
		.amdhsa_kernarg_size 80
		.amdhsa_user_sgpr_count 6
		.amdhsa_user_sgpr_private_segment_buffer 1
		.amdhsa_user_sgpr_dispatch_ptr 0
		.amdhsa_user_sgpr_queue_ptr 0
		.amdhsa_user_sgpr_kernarg_segment_ptr 1
		.amdhsa_user_sgpr_dispatch_id 0
		.amdhsa_user_sgpr_flat_scratch_init 0
		.amdhsa_user_sgpr_private_segment_size 0
		.amdhsa_uses_dynamic_stack 0
		.amdhsa_system_sgpr_private_segment_wavefront_offset 0
		.amdhsa_system_sgpr_workgroup_id_x 1
		.amdhsa_system_sgpr_workgroup_id_y 0
		.amdhsa_system_sgpr_workgroup_id_z 0
		.amdhsa_system_sgpr_workgroup_info 0
		.amdhsa_system_vgpr_workitem_id 0
		.amdhsa_next_free_vgpr 1
		.amdhsa_next_free_sgpr 0
		.amdhsa_reserve_vcc 0
		.amdhsa_reserve_flat_scratch 0
		.amdhsa_float_round_mode_32 0
		.amdhsa_float_round_mode_16_64 0
		.amdhsa_float_denorm_mode_32 3
		.amdhsa_float_denorm_mode_16_64 3
		.amdhsa_dx10_clamp 1
		.amdhsa_ieee_mode 1
		.amdhsa_fp16_overflow 0
		.amdhsa_exception_fp_ieee_invalid_op 0
		.amdhsa_exception_fp_denorm_src 0
		.amdhsa_exception_fp_ieee_div_zero 0
		.amdhsa_exception_fp_ieee_overflow 0
		.amdhsa_exception_fp_ieee_underflow 0
		.amdhsa_exception_fp_ieee_inexact 0
		.amdhsa_exception_int_div_zero 0
	.end_amdhsa_kernel
	.section	.text._ZN7rocprim17ROCPRIM_400000_NS6detail17trampoline_kernelINS0_14default_configENS1_22reduce_config_selectorIN6thrust23THRUST_200600_302600_NS5tupleIbffNS6_9null_typeES8_S8_S8_S8_S8_S8_EEEEZNS1_11reduce_implILb1ES3_NS6_11hip_rocprim26transform_input_iterator_tIS9_NS6_12zip_iteratorINS7_INS6_17counting_iteratorIiNS6_11use_defaultESG_SG_EENS6_6detail15normal_iteratorINS6_10device_ptrIfEEEES8_S8_S8_S8_S8_S8_S8_S8_EEEE15transform_tupleIifEEEPS9_S9_12reduce_tupleIifEEE10hipError_tPvRmT1_T2_T3_mT4_P12ihipStream_tbEUlT_E0_NS1_11comp_targetILNS1_3genE5ELNS1_11target_archE942ELNS1_3gpuE9ELNS1_3repE0EEENS1_30default_config_static_selectorELNS0_4arch9wavefront6targetE1EEEvSY_,"axG",@progbits,_ZN7rocprim17ROCPRIM_400000_NS6detail17trampoline_kernelINS0_14default_configENS1_22reduce_config_selectorIN6thrust23THRUST_200600_302600_NS5tupleIbffNS6_9null_typeES8_S8_S8_S8_S8_S8_EEEEZNS1_11reduce_implILb1ES3_NS6_11hip_rocprim26transform_input_iterator_tIS9_NS6_12zip_iteratorINS7_INS6_17counting_iteratorIiNS6_11use_defaultESG_SG_EENS6_6detail15normal_iteratorINS6_10device_ptrIfEEEES8_S8_S8_S8_S8_S8_S8_S8_EEEE15transform_tupleIifEEEPS9_S9_12reduce_tupleIifEEE10hipError_tPvRmT1_T2_T3_mT4_P12ihipStream_tbEUlT_E0_NS1_11comp_targetILNS1_3genE5ELNS1_11target_archE942ELNS1_3gpuE9ELNS1_3repE0EEENS1_30default_config_static_selectorELNS0_4arch9wavefront6targetE1EEEvSY_,comdat
.Lfunc_end20:
	.size	_ZN7rocprim17ROCPRIM_400000_NS6detail17trampoline_kernelINS0_14default_configENS1_22reduce_config_selectorIN6thrust23THRUST_200600_302600_NS5tupleIbffNS6_9null_typeES8_S8_S8_S8_S8_S8_EEEEZNS1_11reduce_implILb1ES3_NS6_11hip_rocprim26transform_input_iterator_tIS9_NS6_12zip_iteratorINS7_INS6_17counting_iteratorIiNS6_11use_defaultESG_SG_EENS6_6detail15normal_iteratorINS6_10device_ptrIfEEEES8_S8_S8_S8_S8_S8_S8_S8_EEEE15transform_tupleIifEEEPS9_S9_12reduce_tupleIifEEE10hipError_tPvRmT1_T2_T3_mT4_P12ihipStream_tbEUlT_E0_NS1_11comp_targetILNS1_3genE5ELNS1_11target_archE942ELNS1_3gpuE9ELNS1_3repE0EEENS1_30default_config_static_selectorELNS0_4arch9wavefront6targetE1EEEvSY_, .Lfunc_end20-_ZN7rocprim17ROCPRIM_400000_NS6detail17trampoline_kernelINS0_14default_configENS1_22reduce_config_selectorIN6thrust23THRUST_200600_302600_NS5tupleIbffNS6_9null_typeES8_S8_S8_S8_S8_S8_EEEEZNS1_11reduce_implILb1ES3_NS6_11hip_rocprim26transform_input_iterator_tIS9_NS6_12zip_iteratorINS7_INS6_17counting_iteratorIiNS6_11use_defaultESG_SG_EENS6_6detail15normal_iteratorINS6_10device_ptrIfEEEES8_S8_S8_S8_S8_S8_S8_S8_EEEE15transform_tupleIifEEEPS9_S9_12reduce_tupleIifEEE10hipError_tPvRmT1_T2_T3_mT4_P12ihipStream_tbEUlT_E0_NS1_11comp_targetILNS1_3genE5ELNS1_11target_archE942ELNS1_3gpuE9ELNS1_3repE0EEENS1_30default_config_static_selectorELNS0_4arch9wavefront6targetE1EEEvSY_
                                        ; -- End function
	.set _ZN7rocprim17ROCPRIM_400000_NS6detail17trampoline_kernelINS0_14default_configENS1_22reduce_config_selectorIN6thrust23THRUST_200600_302600_NS5tupleIbffNS6_9null_typeES8_S8_S8_S8_S8_S8_EEEEZNS1_11reduce_implILb1ES3_NS6_11hip_rocprim26transform_input_iterator_tIS9_NS6_12zip_iteratorINS7_INS6_17counting_iteratorIiNS6_11use_defaultESG_SG_EENS6_6detail15normal_iteratorINS6_10device_ptrIfEEEES8_S8_S8_S8_S8_S8_S8_S8_EEEE15transform_tupleIifEEEPS9_S9_12reduce_tupleIifEEE10hipError_tPvRmT1_T2_T3_mT4_P12ihipStream_tbEUlT_E0_NS1_11comp_targetILNS1_3genE5ELNS1_11target_archE942ELNS1_3gpuE9ELNS1_3repE0EEENS1_30default_config_static_selectorELNS0_4arch9wavefront6targetE1EEEvSY_.num_vgpr, 0
	.set _ZN7rocprim17ROCPRIM_400000_NS6detail17trampoline_kernelINS0_14default_configENS1_22reduce_config_selectorIN6thrust23THRUST_200600_302600_NS5tupleIbffNS6_9null_typeES8_S8_S8_S8_S8_S8_EEEEZNS1_11reduce_implILb1ES3_NS6_11hip_rocprim26transform_input_iterator_tIS9_NS6_12zip_iteratorINS7_INS6_17counting_iteratorIiNS6_11use_defaultESG_SG_EENS6_6detail15normal_iteratorINS6_10device_ptrIfEEEES8_S8_S8_S8_S8_S8_S8_S8_EEEE15transform_tupleIifEEEPS9_S9_12reduce_tupleIifEEE10hipError_tPvRmT1_T2_T3_mT4_P12ihipStream_tbEUlT_E0_NS1_11comp_targetILNS1_3genE5ELNS1_11target_archE942ELNS1_3gpuE9ELNS1_3repE0EEENS1_30default_config_static_selectorELNS0_4arch9wavefront6targetE1EEEvSY_.num_agpr, 0
	.set _ZN7rocprim17ROCPRIM_400000_NS6detail17trampoline_kernelINS0_14default_configENS1_22reduce_config_selectorIN6thrust23THRUST_200600_302600_NS5tupleIbffNS6_9null_typeES8_S8_S8_S8_S8_S8_EEEEZNS1_11reduce_implILb1ES3_NS6_11hip_rocprim26transform_input_iterator_tIS9_NS6_12zip_iteratorINS7_INS6_17counting_iteratorIiNS6_11use_defaultESG_SG_EENS6_6detail15normal_iteratorINS6_10device_ptrIfEEEES8_S8_S8_S8_S8_S8_S8_S8_EEEE15transform_tupleIifEEEPS9_S9_12reduce_tupleIifEEE10hipError_tPvRmT1_T2_T3_mT4_P12ihipStream_tbEUlT_E0_NS1_11comp_targetILNS1_3genE5ELNS1_11target_archE942ELNS1_3gpuE9ELNS1_3repE0EEENS1_30default_config_static_selectorELNS0_4arch9wavefront6targetE1EEEvSY_.numbered_sgpr, 0
	.set _ZN7rocprim17ROCPRIM_400000_NS6detail17trampoline_kernelINS0_14default_configENS1_22reduce_config_selectorIN6thrust23THRUST_200600_302600_NS5tupleIbffNS6_9null_typeES8_S8_S8_S8_S8_S8_EEEEZNS1_11reduce_implILb1ES3_NS6_11hip_rocprim26transform_input_iterator_tIS9_NS6_12zip_iteratorINS7_INS6_17counting_iteratorIiNS6_11use_defaultESG_SG_EENS6_6detail15normal_iteratorINS6_10device_ptrIfEEEES8_S8_S8_S8_S8_S8_S8_S8_EEEE15transform_tupleIifEEEPS9_S9_12reduce_tupleIifEEE10hipError_tPvRmT1_T2_T3_mT4_P12ihipStream_tbEUlT_E0_NS1_11comp_targetILNS1_3genE5ELNS1_11target_archE942ELNS1_3gpuE9ELNS1_3repE0EEENS1_30default_config_static_selectorELNS0_4arch9wavefront6targetE1EEEvSY_.num_named_barrier, 0
	.set _ZN7rocprim17ROCPRIM_400000_NS6detail17trampoline_kernelINS0_14default_configENS1_22reduce_config_selectorIN6thrust23THRUST_200600_302600_NS5tupleIbffNS6_9null_typeES8_S8_S8_S8_S8_S8_EEEEZNS1_11reduce_implILb1ES3_NS6_11hip_rocprim26transform_input_iterator_tIS9_NS6_12zip_iteratorINS7_INS6_17counting_iteratorIiNS6_11use_defaultESG_SG_EENS6_6detail15normal_iteratorINS6_10device_ptrIfEEEES8_S8_S8_S8_S8_S8_S8_S8_EEEE15transform_tupleIifEEEPS9_S9_12reduce_tupleIifEEE10hipError_tPvRmT1_T2_T3_mT4_P12ihipStream_tbEUlT_E0_NS1_11comp_targetILNS1_3genE5ELNS1_11target_archE942ELNS1_3gpuE9ELNS1_3repE0EEENS1_30default_config_static_selectorELNS0_4arch9wavefront6targetE1EEEvSY_.private_seg_size, 0
	.set _ZN7rocprim17ROCPRIM_400000_NS6detail17trampoline_kernelINS0_14default_configENS1_22reduce_config_selectorIN6thrust23THRUST_200600_302600_NS5tupleIbffNS6_9null_typeES8_S8_S8_S8_S8_S8_EEEEZNS1_11reduce_implILb1ES3_NS6_11hip_rocprim26transform_input_iterator_tIS9_NS6_12zip_iteratorINS7_INS6_17counting_iteratorIiNS6_11use_defaultESG_SG_EENS6_6detail15normal_iteratorINS6_10device_ptrIfEEEES8_S8_S8_S8_S8_S8_S8_S8_EEEE15transform_tupleIifEEEPS9_S9_12reduce_tupleIifEEE10hipError_tPvRmT1_T2_T3_mT4_P12ihipStream_tbEUlT_E0_NS1_11comp_targetILNS1_3genE5ELNS1_11target_archE942ELNS1_3gpuE9ELNS1_3repE0EEENS1_30default_config_static_selectorELNS0_4arch9wavefront6targetE1EEEvSY_.uses_vcc, 0
	.set _ZN7rocprim17ROCPRIM_400000_NS6detail17trampoline_kernelINS0_14default_configENS1_22reduce_config_selectorIN6thrust23THRUST_200600_302600_NS5tupleIbffNS6_9null_typeES8_S8_S8_S8_S8_S8_EEEEZNS1_11reduce_implILb1ES3_NS6_11hip_rocprim26transform_input_iterator_tIS9_NS6_12zip_iteratorINS7_INS6_17counting_iteratorIiNS6_11use_defaultESG_SG_EENS6_6detail15normal_iteratorINS6_10device_ptrIfEEEES8_S8_S8_S8_S8_S8_S8_S8_EEEE15transform_tupleIifEEEPS9_S9_12reduce_tupleIifEEE10hipError_tPvRmT1_T2_T3_mT4_P12ihipStream_tbEUlT_E0_NS1_11comp_targetILNS1_3genE5ELNS1_11target_archE942ELNS1_3gpuE9ELNS1_3repE0EEENS1_30default_config_static_selectorELNS0_4arch9wavefront6targetE1EEEvSY_.uses_flat_scratch, 0
	.set _ZN7rocprim17ROCPRIM_400000_NS6detail17trampoline_kernelINS0_14default_configENS1_22reduce_config_selectorIN6thrust23THRUST_200600_302600_NS5tupleIbffNS6_9null_typeES8_S8_S8_S8_S8_S8_EEEEZNS1_11reduce_implILb1ES3_NS6_11hip_rocprim26transform_input_iterator_tIS9_NS6_12zip_iteratorINS7_INS6_17counting_iteratorIiNS6_11use_defaultESG_SG_EENS6_6detail15normal_iteratorINS6_10device_ptrIfEEEES8_S8_S8_S8_S8_S8_S8_S8_EEEE15transform_tupleIifEEEPS9_S9_12reduce_tupleIifEEE10hipError_tPvRmT1_T2_T3_mT4_P12ihipStream_tbEUlT_E0_NS1_11comp_targetILNS1_3genE5ELNS1_11target_archE942ELNS1_3gpuE9ELNS1_3repE0EEENS1_30default_config_static_selectorELNS0_4arch9wavefront6targetE1EEEvSY_.has_dyn_sized_stack, 0
	.set _ZN7rocprim17ROCPRIM_400000_NS6detail17trampoline_kernelINS0_14default_configENS1_22reduce_config_selectorIN6thrust23THRUST_200600_302600_NS5tupleIbffNS6_9null_typeES8_S8_S8_S8_S8_S8_EEEEZNS1_11reduce_implILb1ES3_NS6_11hip_rocprim26transform_input_iterator_tIS9_NS6_12zip_iteratorINS7_INS6_17counting_iteratorIiNS6_11use_defaultESG_SG_EENS6_6detail15normal_iteratorINS6_10device_ptrIfEEEES8_S8_S8_S8_S8_S8_S8_S8_EEEE15transform_tupleIifEEEPS9_S9_12reduce_tupleIifEEE10hipError_tPvRmT1_T2_T3_mT4_P12ihipStream_tbEUlT_E0_NS1_11comp_targetILNS1_3genE5ELNS1_11target_archE942ELNS1_3gpuE9ELNS1_3repE0EEENS1_30default_config_static_selectorELNS0_4arch9wavefront6targetE1EEEvSY_.has_recursion, 0
	.set _ZN7rocprim17ROCPRIM_400000_NS6detail17trampoline_kernelINS0_14default_configENS1_22reduce_config_selectorIN6thrust23THRUST_200600_302600_NS5tupleIbffNS6_9null_typeES8_S8_S8_S8_S8_S8_EEEEZNS1_11reduce_implILb1ES3_NS6_11hip_rocprim26transform_input_iterator_tIS9_NS6_12zip_iteratorINS7_INS6_17counting_iteratorIiNS6_11use_defaultESG_SG_EENS6_6detail15normal_iteratorINS6_10device_ptrIfEEEES8_S8_S8_S8_S8_S8_S8_S8_EEEE15transform_tupleIifEEEPS9_S9_12reduce_tupleIifEEE10hipError_tPvRmT1_T2_T3_mT4_P12ihipStream_tbEUlT_E0_NS1_11comp_targetILNS1_3genE5ELNS1_11target_archE942ELNS1_3gpuE9ELNS1_3repE0EEENS1_30default_config_static_selectorELNS0_4arch9wavefront6targetE1EEEvSY_.has_indirect_call, 0
	.section	.AMDGPU.csdata,"",@progbits
; Kernel info:
; codeLenInByte = 0
; TotalNumSgprs: 4
; NumVgprs: 0
; ScratchSize: 0
; MemoryBound: 0
; FloatMode: 240
; IeeeMode: 1
; LDSByteSize: 0 bytes/workgroup (compile time only)
; SGPRBlocks: 0
; VGPRBlocks: 0
; NumSGPRsForWavesPerEU: 4
; NumVGPRsForWavesPerEU: 1
; Occupancy: 10
; WaveLimiterHint : 0
; COMPUTE_PGM_RSRC2:SCRATCH_EN: 0
; COMPUTE_PGM_RSRC2:USER_SGPR: 6
; COMPUTE_PGM_RSRC2:TRAP_HANDLER: 0
; COMPUTE_PGM_RSRC2:TGID_X_EN: 1
; COMPUTE_PGM_RSRC2:TGID_Y_EN: 0
; COMPUTE_PGM_RSRC2:TGID_Z_EN: 0
; COMPUTE_PGM_RSRC2:TIDIG_COMP_CNT: 0
	.section	.text._ZN7rocprim17ROCPRIM_400000_NS6detail17trampoline_kernelINS0_14default_configENS1_22reduce_config_selectorIN6thrust23THRUST_200600_302600_NS5tupleIbffNS6_9null_typeES8_S8_S8_S8_S8_S8_EEEEZNS1_11reduce_implILb1ES3_NS6_11hip_rocprim26transform_input_iterator_tIS9_NS6_12zip_iteratorINS7_INS6_17counting_iteratorIiNS6_11use_defaultESG_SG_EENS6_6detail15normal_iteratorINS6_10device_ptrIfEEEES8_S8_S8_S8_S8_S8_S8_S8_EEEE15transform_tupleIifEEEPS9_S9_12reduce_tupleIifEEE10hipError_tPvRmT1_T2_T3_mT4_P12ihipStream_tbEUlT_E0_NS1_11comp_targetILNS1_3genE4ELNS1_11target_archE910ELNS1_3gpuE8ELNS1_3repE0EEENS1_30default_config_static_selectorELNS0_4arch9wavefront6targetE1EEEvSY_,"axG",@progbits,_ZN7rocprim17ROCPRIM_400000_NS6detail17trampoline_kernelINS0_14default_configENS1_22reduce_config_selectorIN6thrust23THRUST_200600_302600_NS5tupleIbffNS6_9null_typeES8_S8_S8_S8_S8_S8_EEEEZNS1_11reduce_implILb1ES3_NS6_11hip_rocprim26transform_input_iterator_tIS9_NS6_12zip_iteratorINS7_INS6_17counting_iteratorIiNS6_11use_defaultESG_SG_EENS6_6detail15normal_iteratorINS6_10device_ptrIfEEEES8_S8_S8_S8_S8_S8_S8_S8_EEEE15transform_tupleIifEEEPS9_S9_12reduce_tupleIifEEE10hipError_tPvRmT1_T2_T3_mT4_P12ihipStream_tbEUlT_E0_NS1_11comp_targetILNS1_3genE4ELNS1_11target_archE910ELNS1_3gpuE8ELNS1_3repE0EEENS1_30default_config_static_selectorELNS0_4arch9wavefront6targetE1EEEvSY_,comdat
	.protected	_ZN7rocprim17ROCPRIM_400000_NS6detail17trampoline_kernelINS0_14default_configENS1_22reduce_config_selectorIN6thrust23THRUST_200600_302600_NS5tupleIbffNS6_9null_typeES8_S8_S8_S8_S8_S8_EEEEZNS1_11reduce_implILb1ES3_NS6_11hip_rocprim26transform_input_iterator_tIS9_NS6_12zip_iteratorINS7_INS6_17counting_iteratorIiNS6_11use_defaultESG_SG_EENS6_6detail15normal_iteratorINS6_10device_ptrIfEEEES8_S8_S8_S8_S8_S8_S8_S8_EEEE15transform_tupleIifEEEPS9_S9_12reduce_tupleIifEEE10hipError_tPvRmT1_T2_T3_mT4_P12ihipStream_tbEUlT_E0_NS1_11comp_targetILNS1_3genE4ELNS1_11target_archE910ELNS1_3gpuE8ELNS1_3repE0EEENS1_30default_config_static_selectorELNS0_4arch9wavefront6targetE1EEEvSY_ ; -- Begin function _ZN7rocprim17ROCPRIM_400000_NS6detail17trampoline_kernelINS0_14default_configENS1_22reduce_config_selectorIN6thrust23THRUST_200600_302600_NS5tupleIbffNS6_9null_typeES8_S8_S8_S8_S8_S8_EEEEZNS1_11reduce_implILb1ES3_NS6_11hip_rocprim26transform_input_iterator_tIS9_NS6_12zip_iteratorINS7_INS6_17counting_iteratorIiNS6_11use_defaultESG_SG_EENS6_6detail15normal_iteratorINS6_10device_ptrIfEEEES8_S8_S8_S8_S8_S8_S8_S8_EEEE15transform_tupleIifEEEPS9_S9_12reduce_tupleIifEEE10hipError_tPvRmT1_T2_T3_mT4_P12ihipStream_tbEUlT_E0_NS1_11comp_targetILNS1_3genE4ELNS1_11target_archE910ELNS1_3gpuE8ELNS1_3repE0EEENS1_30default_config_static_selectorELNS0_4arch9wavefront6targetE1EEEvSY_
	.globl	_ZN7rocprim17ROCPRIM_400000_NS6detail17trampoline_kernelINS0_14default_configENS1_22reduce_config_selectorIN6thrust23THRUST_200600_302600_NS5tupleIbffNS6_9null_typeES8_S8_S8_S8_S8_S8_EEEEZNS1_11reduce_implILb1ES3_NS6_11hip_rocprim26transform_input_iterator_tIS9_NS6_12zip_iteratorINS7_INS6_17counting_iteratorIiNS6_11use_defaultESG_SG_EENS6_6detail15normal_iteratorINS6_10device_ptrIfEEEES8_S8_S8_S8_S8_S8_S8_S8_EEEE15transform_tupleIifEEEPS9_S9_12reduce_tupleIifEEE10hipError_tPvRmT1_T2_T3_mT4_P12ihipStream_tbEUlT_E0_NS1_11comp_targetILNS1_3genE4ELNS1_11target_archE910ELNS1_3gpuE8ELNS1_3repE0EEENS1_30default_config_static_selectorELNS0_4arch9wavefront6targetE1EEEvSY_
	.p2align	8
	.type	_ZN7rocprim17ROCPRIM_400000_NS6detail17trampoline_kernelINS0_14default_configENS1_22reduce_config_selectorIN6thrust23THRUST_200600_302600_NS5tupleIbffNS6_9null_typeES8_S8_S8_S8_S8_S8_EEEEZNS1_11reduce_implILb1ES3_NS6_11hip_rocprim26transform_input_iterator_tIS9_NS6_12zip_iteratorINS7_INS6_17counting_iteratorIiNS6_11use_defaultESG_SG_EENS6_6detail15normal_iteratorINS6_10device_ptrIfEEEES8_S8_S8_S8_S8_S8_S8_S8_EEEE15transform_tupleIifEEEPS9_S9_12reduce_tupleIifEEE10hipError_tPvRmT1_T2_T3_mT4_P12ihipStream_tbEUlT_E0_NS1_11comp_targetILNS1_3genE4ELNS1_11target_archE910ELNS1_3gpuE8ELNS1_3repE0EEENS1_30default_config_static_selectorELNS0_4arch9wavefront6targetE1EEEvSY_,@function
_ZN7rocprim17ROCPRIM_400000_NS6detail17trampoline_kernelINS0_14default_configENS1_22reduce_config_selectorIN6thrust23THRUST_200600_302600_NS5tupleIbffNS6_9null_typeES8_S8_S8_S8_S8_S8_EEEEZNS1_11reduce_implILb1ES3_NS6_11hip_rocprim26transform_input_iterator_tIS9_NS6_12zip_iteratorINS7_INS6_17counting_iteratorIiNS6_11use_defaultESG_SG_EENS6_6detail15normal_iteratorINS6_10device_ptrIfEEEES8_S8_S8_S8_S8_S8_S8_S8_EEEE15transform_tupleIifEEEPS9_S9_12reduce_tupleIifEEE10hipError_tPvRmT1_T2_T3_mT4_P12ihipStream_tbEUlT_E0_NS1_11comp_targetILNS1_3genE4ELNS1_11target_archE910ELNS1_3gpuE8ELNS1_3repE0EEENS1_30default_config_static_selectorELNS0_4arch9wavefront6targetE1EEEvSY_: ; @_ZN7rocprim17ROCPRIM_400000_NS6detail17trampoline_kernelINS0_14default_configENS1_22reduce_config_selectorIN6thrust23THRUST_200600_302600_NS5tupleIbffNS6_9null_typeES8_S8_S8_S8_S8_S8_EEEEZNS1_11reduce_implILb1ES3_NS6_11hip_rocprim26transform_input_iterator_tIS9_NS6_12zip_iteratorINS7_INS6_17counting_iteratorIiNS6_11use_defaultESG_SG_EENS6_6detail15normal_iteratorINS6_10device_ptrIfEEEES8_S8_S8_S8_S8_S8_S8_S8_EEEE15transform_tupleIifEEEPS9_S9_12reduce_tupleIifEEE10hipError_tPvRmT1_T2_T3_mT4_P12ihipStream_tbEUlT_E0_NS1_11comp_targetILNS1_3genE4ELNS1_11target_archE910ELNS1_3gpuE8ELNS1_3repE0EEENS1_30default_config_static_selectorELNS0_4arch9wavefront6targetE1EEEvSY_
; %bb.0:
	.section	.rodata,"a",@progbits
	.p2align	6, 0x0
	.amdhsa_kernel _ZN7rocprim17ROCPRIM_400000_NS6detail17trampoline_kernelINS0_14default_configENS1_22reduce_config_selectorIN6thrust23THRUST_200600_302600_NS5tupleIbffNS6_9null_typeES8_S8_S8_S8_S8_S8_EEEEZNS1_11reduce_implILb1ES3_NS6_11hip_rocprim26transform_input_iterator_tIS9_NS6_12zip_iteratorINS7_INS6_17counting_iteratorIiNS6_11use_defaultESG_SG_EENS6_6detail15normal_iteratorINS6_10device_ptrIfEEEES8_S8_S8_S8_S8_S8_S8_S8_EEEE15transform_tupleIifEEEPS9_S9_12reduce_tupleIifEEE10hipError_tPvRmT1_T2_T3_mT4_P12ihipStream_tbEUlT_E0_NS1_11comp_targetILNS1_3genE4ELNS1_11target_archE910ELNS1_3gpuE8ELNS1_3repE0EEENS1_30default_config_static_selectorELNS0_4arch9wavefront6targetE1EEEvSY_
		.amdhsa_group_segment_fixed_size 0
		.amdhsa_private_segment_fixed_size 0
		.amdhsa_kernarg_size 80
		.amdhsa_user_sgpr_count 6
		.amdhsa_user_sgpr_private_segment_buffer 1
		.amdhsa_user_sgpr_dispatch_ptr 0
		.amdhsa_user_sgpr_queue_ptr 0
		.amdhsa_user_sgpr_kernarg_segment_ptr 1
		.amdhsa_user_sgpr_dispatch_id 0
		.amdhsa_user_sgpr_flat_scratch_init 0
		.amdhsa_user_sgpr_private_segment_size 0
		.amdhsa_uses_dynamic_stack 0
		.amdhsa_system_sgpr_private_segment_wavefront_offset 0
		.amdhsa_system_sgpr_workgroup_id_x 1
		.amdhsa_system_sgpr_workgroup_id_y 0
		.amdhsa_system_sgpr_workgroup_id_z 0
		.amdhsa_system_sgpr_workgroup_info 0
		.amdhsa_system_vgpr_workitem_id 0
		.amdhsa_next_free_vgpr 1
		.amdhsa_next_free_sgpr 0
		.amdhsa_reserve_vcc 0
		.amdhsa_reserve_flat_scratch 0
		.amdhsa_float_round_mode_32 0
		.amdhsa_float_round_mode_16_64 0
		.amdhsa_float_denorm_mode_32 3
		.amdhsa_float_denorm_mode_16_64 3
		.amdhsa_dx10_clamp 1
		.amdhsa_ieee_mode 1
		.amdhsa_fp16_overflow 0
		.amdhsa_exception_fp_ieee_invalid_op 0
		.amdhsa_exception_fp_denorm_src 0
		.amdhsa_exception_fp_ieee_div_zero 0
		.amdhsa_exception_fp_ieee_overflow 0
		.amdhsa_exception_fp_ieee_underflow 0
		.amdhsa_exception_fp_ieee_inexact 0
		.amdhsa_exception_int_div_zero 0
	.end_amdhsa_kernel
	.section	.text._ZN7rocprim17ROCPRIM_400000_NS6detail17trampoline_kernelINS0_14default_configENS1_22reduce_config_selectorIN6thrust23THRUST_200600_302600_NS5tupleIbffNS6_9null_typeES8_S8_S8_S8_S8_S8_EEEEZNS1_11reduce_implILb1ES3_NS6_11hip_rocprim26transform_input_iterator_tIS9_NS6_12zip_iteratorINS7_INS6_17counting_iteratorIiNS6_11use_defaultESG_SG_EENS6_6detail15normal_iteratorINS6_10device_ptrIfEEEES8_S8_S8_S8_S8_S8_S8_S8_EEEE15transform_tupleIifEEEPS9_S9_12reduce_tupleIifEEE10hipError_tPvRmT1_T2_T3_mT4_P12ihipStream_tbEUlT_E0_NS1_11comp_targetILNS1_3genE4ELNS1_11target_archE910ELNS1_3gpuE8ELNS1_3repE0EEENS1_30default_config_static_selectorELNS0_4arch9wavefront6targetE1EEEvSY_,"axG",@progbits,_ZN7rocprim17ROCPRIM_400000_NS6detail17trampoline_kernelINS0_14default_configENS1_22reduce_config_selectorIN6thrust23THRUST_200600_302600_NS5tupleIbffNS6_9null_typeES8_S8_S8_S8_S8_S8_EEEEZNS1_11reduce_implILb1ES3_NS6_11hip_rocprim26transform_input_iterator_tIS9_NS6_12zip_iteratorINS7_INS6_17counting_iteratorIiNS6_11use_defaultESG_SG_EENS6_6detail15normal_iteratorINS6_10device_ptrIfEEEES8_S8_S8_S8_S8_S8_S8_S8_EEEE15transform_tupleIifEEEPS9_S9_12reduce_tupleIifEEE10hipError_tPvRmT1_T2_T3_mT4_P12ihipStream_tbEUlT_E0_NS1_11comp_targetILNS1_3genE4ELNS1_11target_archE910ELNS1_3gpuE8ELNS1_3repE0EEENS1_30default_config_static_selectorELNS0_4arch9wavefront6targetE1EEEvSY_,comdat
.Lfunc_end21:
	.size	_ZN7rocprim17ROCPRIM_400000_NS6detail17trampoline_kernelINS0_14default_configENS1_22reduce_config_selectorIN6thrust23THRUST_200600_302600_NS5tupleIbffNS6_9null_typeES8_S8_S8_S8_S8_S8_EEEEZNS1_11reduce_implILb1ES3_NS6_11hip_rocprim26transform_input_iterator_tIS9_NS6_12zip_iteratorINS7_INS6_17counting_iteratorIiNS6_11use_defaultESG_SG_EENS6_6detail15normal_iteratorINS6_10device_ptrIfEEEES8_S8_S8_S8_S8_S8_S8_S8_EEEE15transform_tupleIifEEEPS9_S9_12reduce_tupleIifEEE10hipError_tPvRmT1_T2_T3_mT4_P12ihipStream_tbEUlT_E0_NS1_11comp_targetILNS1_3genE4ELNS1_11target_archE910ELNS1_3gpuE8ELNS1_3repE0EEENS1_30default_config_static_selectorELNS0_4arch9wavefront6targetE1EEEvSY_, .Lfunc_end21-_ZN7rocprim17ROCPRIM_400000_NS6detail17trampoline_kernelINS0_14default_configENS1_22reduce_config_selectorIN6thrust23THRUST_200600_302600_NS5tupleIbffNS6_9null_typeES8_S8_S8_S8_S8_S8_EEEEZNS1_11reduce_implILb1ES3_NS6_11hip_rocprim26transform_input_iterator_tIS9_NS6_12zip_iteratorINS7_INS6_17counting_iteratorIiNS6_11use_defaultESG_SG_EENS6_6detail15normal_iteratorINS6_10device_ptrIfEEEES8_S8_S8_S8_S8_S8_S8_S8_EEEE15transform_tupleIifEEEPS9_S9_12reduce_tupleIifEEE10hipError_tPvRmT1_T2_T3_mT4_P12ihipStream_tbEUlT_E0_NS1_11comp_targetILNS1_3genE4ELNS1_11target_archE910ELNS1_3gpuE8ELNS1_3repE0EEENS1_30default_config_static_selectorELNS0_4arch9wavefront6targetE1EEEvSY_
                                        ; -- End function
	.set _ZN7rocprim17ROCPRIM_400000_NS6detail17trampoline_kernelINS0_14default_configENS1_22reduce_config_selectorIN6thrust23THRUST_200600_302600_NS5tupleIbffNS6_9null_typeES8_S8_S8_S8_S8_S8_EEEEZNS1_11reduce_implILb1ES3_NS6_11hip_rocprim26transform_input_iterator_tIS9_NS6_12zip_iteratorINS7_INS6_17counting_iteratorIiNS6_11use_defaultESG_SG_EENS6_6detail15normal_iteratorINS6_10device_ptrIfEEEES8_S8_S8_S8_S8_S8_S8_S8_EEEE15transform_tupleIifEEEPS9_S9_12reduce_tupleIifEEE10hipError_tPvRmT1_T2_T3_mT4_P12ihipStream_tbEUlT_E0_NS1_11comp_targetILNS1_3genE4ELNS1_11target_archE910ELNS1_3gpuE8ELNS1_3repE0EEENS1_30default_config_static_selectorELNS0_4arch9wavefront6targetE1EEEvSY_.num_vgpr, 0
	.set _ZN7rocprim17ROCPRIM_400000_NS6detail17trampoline_kernelINS0_14default_configENS1_22reduce_config_selectorIN6thrust23THRUST_200600_302600_NS5tupleIbffNS6_9null_typeES8_S8_S8_S8_S8_S8_EEEEZNS1_11reduce_implILb1ES3_NS6_11hip_rocprim26transform_input_iterator_tIS9_NS6_12zip_iteratorINS7_INS6_17counting_iteratorIiNS6_11use_defaultESG_SG_EENS6_6detail15normal_iteratorINS6_10device_ptrIfEEEES8_S8_S8_S8_S8_S8_S8_S8_EEEE15transform_tupleIifEEEPS9_S9_12reduce_tupleIifEEE10hipError_tPvRmT1_T2_T3_mT4_P12ihipStream_tbEUlT_E0_NS1_11comp_targetILNS1_3genE4ELNS1_11target_archE910ELNS1_3gpuE8ELNS1_3repE0EEENS1_30default_config_static_selectorELNS0_4arch9wavefront6targetE1EEEvSY_.num_agpr, 0
	.set _ZN7rocprim17ROCPRIM_400000_NS6detail17trampoline_kernelINS0_14default_configENS1_22reduce_config_selectorIN6thrust23THRUST_200600_302600_NS5tupleIbffNS6_9null_typeES8_S8_S8_S8_S8_S8_EEEEZNS1_11reduce_implILb1ES3_NS6_11hip_rocprim26transform_input_iterator_tIS9_NS6_12zip_iteratorINS7_INS6_17counting_iteratorIiNS6_11use_defaultESG_SG_EENS6_6detail15normal_iteratorINS6_10device_ptrIfEEEES8_S8_S8_S8_S8_S8_S8_S8_EEEE15transform_tupleIifEEEPS9_S9_12reduce_tupleIifEEE10hipError_tPvRmT1_T2_T3_mT4_P12ihipStream_tbEUlT_E0_NS1_11comp_targetILNS1_3genE4ELNS1_11target_archE910ELNS1_3gpuE8ELNS1_3repE0EEENS1_30default_config_static_selectorELNS0_4arch9wavefront6targetE1EEEvSY_.numbered_sgpr, 0
	.set _ZN7rocprim17ROCPRIM_400000_NS6detail17trampoline_kernelINS0_14default_configENS1_22reduce_config_selectorIN6thrust23THRUST_200600_302600_NS5tupleIbffNS6_9null_typeES8_S8_S8_S8_S8_S8_EEEEZNS1_11reduce_implILb1ES3_NS6_11hip_rocprim26transform_input_iterator_tIS9_NS6_12zip_iteratorINS7_INS6_17counting_iteratorIiNS6_11use_defaultESG_SG_EENS6_6detail15normal_iteratorINS6_10device_ptrIfEEEES8_S8_S8_S8_S8_S8_S8_S8_EEEE15transform_tupleIifEEEPS9_S9_12reduce_tupleIifEEE10hipError_tPvRmT1_T2_T3_mT4_P12ihipStream_tbEUlT_E0_NS1_11comp_targetILNS1_3genE4ELNS1_11target_archE910ELNS1_3gpuE8ELNS1_3repE0EEENS1_30default_config_static_selectorELNS0_4arch9wavefront6targetE1EEEvSY_.num_named_barrier, 0
	.set _ZN7rocprim17ROCPRIM_400000_NS6detail17trampoline_kernelINS0_14default_configENS1_22reduce_config_selectorIN6thrust23THRUST_200600_302600_NS5tupleIbffNS6_9null_typeES8_S8_S8_S8_S8_S8_EEEEZNS1_11reduce_implILb1ES3_NS6_11hip_rocprim26transform_input_iterator_tIS9_NS6_12zip_iteratorINS7_INS6_17counting_iteratorIiNS6_11use_defaultESG_SG_EENS6_6detail15normal_iteratorINS6_10device_ptrIfEEEES8_S8_S8_S8_S8_S8_S8_S8_EEEE15transform_tupleIifEEEPS9_S9_12reduce_tupleIifEEE10hipError_tPvRmT1_T2_T3_mT4_P12ihipStream_tbEUlT_E0_NS1_11comp_targetILNS1_3genE4ELNS1_11target_archE910ELNS1_3gpuE8ELNS1_3repE0EEENS1_30default_config_static_selectorELNS0_4arch9wavefront6targetE1EEEvSY_.private_seg_size, 0
	.set _ZN7rocprim17ROCPRIM_400000_NS6detail17trampoline_kernelINS0_14default_configENS1_22reduce_config_selectorIN6thrust23THRUST_200600_302600_NS5tupleIbffNS6_9null_typeES8_S8_S8_S8_S8_S8_EEEEZNS1_11reduce_implILb1ES3_NS6_11hip_rocprim26transform_input_iterator_tIS9_NS6_12zip_iteratorINS7_INS6_17counting_iteratorIiNS6_11use_defaultESG_SG_EENS6_6detail15normal_iteratorINS6_10device_ptrIfEEEES8_S8_S8_S8_S8_S8_S8_S8_EEEE15transform_tupleIifEEEPS9_S9_12reduce_tupleIifEEE10hipError_tPvRmT1_T2_T3_mT4_P12ihipStream_tbEUlT_E0_NS1_11comp_targetILNS1_3genE4ELNS1_11target_archE910ELNS1_3gpuE8ELNS1_3repE0EEENS1_30default_config_static_selectorELNS0_4arch9wavefront6targetE1EEEvSY_.uses_vcc, 0
	.set _ZN7rocprim17ROCPRIM_400000_NS6detail17trampoline_kernelINS0_14default_configENS1_22reduce_config_selectorIN6thrust23THRUST_200600_302600_NS5tupleIbffNS6_9null_typeES8_S8_S8_S8_S8_S8_EEEEZNS1_11reduce_implILb1ES3_NS6_11hip_rocprim26transform_input_iterator_tIS9_NS6_12zip_iteratorINS7_INS6_17counting_iteratorIiNS6_11use_defaultESG_SG_EENS6_6detail15normal_iteratorINS6_10device_ptrIfEEEES8_S8_S8_S8_S8_S8_S8_S8_EEEE15transform_tupleIifEEEPS9_S9_12reduce_tupleIifEEE10hipError_tPvRmT1_T2_T3_mT4_P12ihipStream_tbEUlT_E0_NS1_11comp_targetILNS1_3genE4ELNS1_11target_archE910ELNS1_3gpuE8ELNS1_3repE0EEENS1_30default_config_static_selectorELNS0_4arch9wavefront6targetE1EEEvSY_.uses_flat_scratch, 0
	.set _ZN7rocprim17ROCPRIM_400000_NS6detail17trampoline_kernelINS0_14default_configENS1_22reduce_config_selectorIN6thrust23THRUST_200600_302600_NS5tupleIbffNS6_9null_typeES8_S8_S8_S8_S8_S8_EEEEZNS1_11reduce_implILb1ES3_NS6_11hip_rocprim26transform_input_iterator_tIS9_NS6_12zip_iteratorINS7_INS6_17counting_iteratorIiNS6_11use_defaultESG_SG_EENS6_6detail15normal_iteratorINS6_10device_ptrIfEEEES8_S8_S8_S8_S8_S8_S8_S8_EEEE15transform_tupleIifEEEPS9_S9_12reduce_tupleIifEEE10hipError_tPvRmT1_T2_T3_mT4_P12ihipStream_tbEUlT_E0_NS1_11comp_targetILNS1_3genE4ELNS1_11target_archE910ELNS1_3gpuE8ELNS1_3repE0EEENS1_30default_config_static_selectorELNS0_4arch9wavefront6targetE1EEEvSY_.has_dyn_sized_stack, 0
	.set _ZN7rocprim17ROCPRIM_400000_NS6detail17trampoline_kernelINS0_14default_configENS1_22reduce_config_selectorIN6thrust23THRUST_200600_302600_NS5tupleIbffNS6_9null_typeES8_S8_S8_S8_S8_S8_EEEEZNS1_11reduce_implILb1ES3_NS6_11hip_rocprim26transform_input_iterator_tIS9_NS6_12zip_iteratorINS7_INS6_17counting_iteratorIiNS6_11use_defaultESG_SG_EENS6_6detail15normal_iteratorINS6_10device_ptrIfEEEES8_S8_S8_S8_S8_S8_S8_S8_EEEE15transform_tupleIifEEEPS9_S9_12reduce_tupleIifEEE10hipError_tPvRmT1_T2_T3_mT4_P12ihipStream_tbEUlT_E0_NS1_11comp_targetILNS1_3genE4ELNS1_11target_archE910ELNS1_3gpuE8ELNS1_3repE0EEENS1_30default_config_static_selectorELNS0_4arch9wavefront6targetE1EEEvSY_.has_recursion, 0
	.set _ZN7rocprim17ROCPRIM_400000_NS6detail17trampoline_kernelINS0_14default_configENS1_22reduce_config_selectorIN6thrust23THRUST_200600_302600_NS5tupleIbffNS6_9null_typeES8_S8_S8_S8_S8_S8_EEEEZNS1_11reduce_implILb1ES3_NS6_11hip_rocprim26transform_input_iterator_tIS9_NS6_12zip_iteratorINS7_INS6_17counting_iteratorIiNS6_11use_defaultESG_SG_EENS6_6detail15normal_iteratorINS6_10device_ptrIfEEEES8_S8_S8_S8_S8_S8_S8_S8_EEEE15transform_tupleIifEEEPS9_S9_12reduce_tupleIifEEE10hipError_tPvRmT1_T2_T3_mT4_P12ihipStream_tbEUlT_E0_NS1_11comp_targetILNS1_3genE4ELNS1_11target_archE910ELNS1_3gpuE8ELNS1_3repE0EEENS1_30default_config_static_selectorELNS0_4arch9wavefront6targetE1EEEvSY_.has_indirect_call, 0
	.section	.AMDGPU.csdata,"",@progbits
; Kernel info:
; codeLenInByte = 0
; TotalNumSgprs: 4
; NumVgprs: 0
; ScratchSize: 0
; MemoryBound: 0
; FloatMode: 240
; IeeeMode: 1
; LDSByteSize: 0 bytes/workgroup (compile time only)
; SGPRBlocks: 0
; VGPRBlocks: 0
; NumSGPRsForWavesPerEU: 4
; NumVGPRsForWavesPerEU: 1
; Occupancy: 10
; WaveLimiterHint : 0
; COMPUTE_PGM_RSRC2:SCRATCH_EN: 0
; COMPUTE_PGM_RSRC2:USER_SGPR: 6
; COMPUTE_PGM_RSRC2:TRAP_HANDLER: 0
; COMPUTE_PGM_RSRC2:TGID_X_EN: 1
; COMPUTE_PGM_RSRC2:TGID_Y_EN: 0
; COMPUTE_PGM_RSRC2:TGID_Z_EN: 0
; COMPUTE_PGM_RSRC2:TIDIG_COMP_CNT: 0
	.section	.text._ZN7rocprim17ROCPRIM_400000_NS6detail17trampoline_kernelINS0_14default_configENS1_22reduce_config_selectorIN6thrust23THRUST_200600_302600_NS5tupleIbffNS6_9null_typeES8_S8_S8_S8_S8_S8_EEEEZNS1_11reduce_implILb1ES3_NS6_11hip_rocprim26transform_input_iterator_tIS9_NS6_12zip_iteratorINS7_INS6_17counting_iteratorIiNS6_11use_defaultESG_SG_EENS6_6detail15normal_iteratorINS6_10device_ptrIfEEEES8_S8_S8_S8_S8_S8_S8_S8_EEEE15transform_tupleIifEEEPS9_S9_12reduce_tupleIifEEE10hipError_tPvRmT1_T2_T3_mT4_P12ihipStream_tbEUlT_E0_NS1_11comp_targetILNS1_3genE3ELNS1_11target_archE908ELNS1_3gpuE7ELNS1_3repE0EEENS1_30default_config_static_selectorELNS0_4arch9wavefront6targetE1EEEvSY_,"axG",@progbits,_ZN7rocprim17ROCPRIM_400000_NS6detail17trampoline_kernelINS0_14default_configENS1_22reduce_config_selectorIN6thrust23THRUST_200600_302600_NS5tupleIbffNS6_9null_typeES8_S8_S8_S8_S8_S8_EEEEZNS1_11reduce_implILb1ES3_NS6_11hip_rocprim26transform_input_iterator_tIS9_NS6_12zip_iteratorINS7_INS6_17counting_iteratorIiNS6_11use_defaultESG_SG_EENS6_6detail15normal_iteratorINS6_10device_ptrIfEEEES8_S8_S8_S8_S8_S8_S8_S8_EEEE15transform_tupleIifEEEPS9_S9_12reduce_tupleIifEEE10hipError_tPvRmT1_T2_T3_mT4_P12ihipStream_tbEUlT_E0_NS1_11comp_targetILNS1_3genE3ELNS1_11target_archE908ELNS1_3gpuE7ELNS1_3repE0EEENS1_30default_config_static_selectorELNS0_4arch9wavefront6targetE1EEEvSY_,comdat
	.protected	_ZN7rocprim17ROCPRIM_400000_NS6detail17trampoline_kernelINS0_14default_configENS1_22reduce_config_selectorIN6thrust23THRUST_200600_302600_NS5tupleIbffNS6_9null_typeES8_S8_S8_S8_S8_S8_EEEEZNS1_11reduce_implILb1ES3_NS6_11hip_rocprim26transform_input_iterator_tIS9_NS6_12zip_iteratorINS7_INS6_17counting_iteratorIiNS6_11use_defaultESG_SG_EENS6_6detail15normal_iteratorINS6_10device_ptrIfEEEES8_S8_S8_S8_S8_S8_S8_S8_EEEE15transform_tupleIifEEEPS9_S9_12reduce_tupleIifEEE10hipError_tPvRmT1_T2_T3_mT4_P12ihipStream_tbEUlT_E0_NS1_11comp_targetILNS1_3genE3ELNS1_11target_archE908ELNS1_3gpuE7ELNS1_3repE0EEENS1_30default_config_static_selectorELNS0_4arch9wavefront6targetE1EEEvSY_ ; -- Begin function _ZN7rocprim17ROCPRIM_400000_NS6detail17trampoline_kernelINS0_14default_configENS1_22reduce_config_selectorIN6thrust23THRUST_200600_302600_NS5tupleIbffNS6_9null_typeES8_S8_S8_S8_S8_S8_EEEEZNS1_11reduce_implILb1ES3_NS6_11hip_rocprim26transform_input_iterator_tIS9_NS6_12zip_iteratorINS7_INS6_17counting_iteratorIiNS6_11use_defaultESG_SG_EENS6_6detail15normal_iteratorINS6_10device_ptrIfEEEES8_S8_S8_S8_S8_S8_S8_S8_EEEE15transform_tupleIifEEEPS9_S9_12reduce_tupleIifEEE10hipError_tPvRmT1_T2_T3_mT4_P12ihipStream_tbEUlT_E0_NS1_11comp_targetILNS1_3genE3ELNS1_11target_archE908ELNS1_3gpuE7ELNS1_3repE0EEENS1_30default_config_static_selectorELNS0_4arch9wavefront6targetE1EEEvSY_
	.globl	_ZN7rocprim17ROCPRIM_400000_NS6detail17trampoline_kernelINS0_14default_configENS1_22reduce_config_selectorIN6thrust23THRUST_200600_302600_NS5tupleIbffNS6_9null_typeES8_S8_S8_S8_S8_S8_EEEEZNS1_11reduce_implILb1ES3_NS6_11hip_rocprim26transform_input_iterator_tIS9_NS6_12zip_iteratorINS7_INS6_17counting_iteratorIiNS6_11use_defaultESG_SG_EENS6_6detail15normal_iteratorINS6_10device_ptrIfEEEES8_S8_S8_S8_S8_S8_S8_S8_EEEE15transform_tupleIifEEEPS9_S9_12reduce_tupleIifEEE10hipError_tPvRmT1_T2_T3_mT4_P12ihipStream_tbEUlT_E0_NS1_11comp_targetILNS1_3genE3ELNS1_11target_archE908ELNS1_3gpuE7ELNS1_3repE0EEENS1_30default_config_static_selectorELNS0_4arch9wavefront6targetE1EEEvSY_
	.p2align	8
	.type	_ZN7rocprim17ROCPRIM_400000_NS6detail17trampoline_kernelINS0_14default_configENS1_22reduce_config_selectorIN6thrust23THRUST_200600_302600_NS5tupleIbffNS6_9null_typeES8_S8_S8_S8_S8_S8_EEEEZNS1_11reduce_implILb1ES3_NS6_11hip_rocprim26transform_input_iterator_tIS9_NS6_12zip_iteratorINS7_INS6_17counting_iteratorIiNS6_11use_defaultESG_SG_EENS6_6detail15normal_iteratorINS6_10device_ptrIfEEEES8_S8_S8_S8_S8_S8_S8_S8_EEEE15transform_tupleIifEEEPS9_S9_12reduce_tupleIifEEE10hipError_tPvRmT1_T2_T3_mT4_P12ihipStream_tbEUlT_E0_NS1_11comp_targetILNS1_3genE3ELNS1_11target_archE908ELNS1_3gpuE7ELNS1_3repE0EEENS1_30default_config_static_selectorELNS0_4arch9wavefront6targetE1EEEvSY_,@function
_ZN7rocprim17ROCPRIM_400000_NS6detail17trampoline_kernelINS0_14default_configENS1_22reduce_config_selectorIN6thrust23THRUST_200600_302600_NS5tupleIbffNS6_9null_typeES8_S8_S8_S8_S8_S8_EEEEZNS1_11reduce_implILb1ES3_NS6_11hip_rocprim26transform_input_iterator_tIS9_NS6_12zip_iteratorINS7_INS6_17counting_iteratorIiNS6_11use_defaultESG_SG_EENS6_6detail15normal_iteratorINS6_10device_ptrIfEEEES8_S8_S8_S8_S8_S8_S8_S8_EEEE15transform_tupleIifEEEPS9_S9_12reduce_tupleIifEEE10hipError_tPvRmT1_T2_T3_mT4_P12ihipStream_tbEUlT_E0_NS1_11comp_targetILNS1_3genE3ELNS1_11target_archE908ELNS1_3gpuE7ELNS1_3repE0EEENS1_30default_config_static_selectorELNS0_4arch9wavefront6targetE1EEEvSY_: ; @_ZN7rocprim17ROCPRIM_400000_NS6detail17trampoline_kernelINS0_14default_configENS1_22reduce_config_selectorIN6thrust23THRUST_200600_302600_NS5tupleIbffNS6_9null_typeES8_S8_S8_S8_S8_S8_EEEEZNS1_11reduce_implILb1ES3_NS6_11hip_rocprim26transform_input_iterator_tIS9_NS6_12zip_iteratorINS7_INS6_17counting_iteratorIiNS6_11use_defaultESG_SG_EENS6_6detail15normal_iteratorINS6_10device_ptrIfEEEES8_S8_S8_S8_S8_S8_S8_S8_EEEE15transform_tupleIifEEEPS9_S9_12reduce_tupleIifEEE10hipError_tPvRmT1_T2_T3_mT4_P12ihipStream_tbEUlT_E0_NS1_11comp_targetILNS1_3genE3ELNS1_11target_archE908ELNS1_3gpuE7ELNS1_3repE0EEENS1_30default_config_static_selectorELNS0_4arch9wavefront6targetE1EEEvSY_
; %bb.0:
	.section	.rodata,"a",@progbits
	.p2align	6, 0x0
	.amdhsa_kernel _ZN7rocprim17ROCPRIM_400000_NS6detail17trampoline_kernelINS0_14default_configENS1_22reduce_config_selectorIN6thrust23THRUST_200600_302600_NS5tupleIbffNS6_9null_typeES8_S8_S8_S8_S8_S8_EEEEZNS1_11reduce_implILb1ES3_NS6_11hip_rocprim26transform_input_iterator_tIS9_NS6_12zip_iteratorINS7_INS6_17counting_iteratorIiNS6_11use_defaultESG_SG_EENS6_6detail15normal_iteratorINS6_10device_ptrIfEEEES8_S8_S8_S8_S8_S8_S8_S8_EEEE15transform_tupleIifEEEPS9_S9_12reduce_tupleIifEEE10hipError_tPvRmT1_T2_T3_mT4_P12ihipStream_tbEUlT_E0_NS1_11comp_targetILNS1_3genE3ELNS1_11target_archE908ELNS1_3gpuE7ELNS1_3repE0EEENS1_30default_config_static_selectorELNS0_4arch9wavefront6targetE1EEEvSY_
		.amdhsa_group_segment_fixed_size 0
		.amdhsa_private_segment_fixed_size 0
		.amdhsa_kernarg_size 80
		.amdhsa_user_sgpr_count 6
		.amdhsa_user_sgpr_private_segment_buffer 1
		.amdhsa_user_sgpr_dispatch_ptr 0
		.amdhsa_user_sgpr_queue_ptr 0
		.amdhsa_user_sgpr_kernarg_segment_ptr 1
		.amdhsa_user_sgpr_dispatch_id 0
		.amdhsa_user_sgpr_flat_scratch_init 0
		.amdhsa_user_sgpr_private_segment_size 0
		.amdhsa_uses_dynamic_stack 0
		.amdhsa_system_sgpr_private_segment_wavefront_offset 0
		.amdhsa_system_sgpr_workgroup_id_x 1
		.amdhsa_system_sgpr_workgroup_id_y 0
		.amdhsa_system_sgpr_workgroup_id_z 0
		.amdhsa_system_sgpr_workgroup_info 0
		.amdhsa_system_vgpr_workitem_id 0
		.amdhsa_next_free_vgpr 1
		.amdhsa_next_free_sgpr 0
		.amdhsa_reserve_vcc 0
		.amdhsa_reserve_flat_scratch 0
		.amdhsa_float_round_mode_32 0
		.amdhsa_float_round_mode_16_64 0
		.amdhsa_float_denorm_mode_32 3
		.amdhsa_float_denorm_mode_16_64 3
		.amdhsa_dx10_clamp 1
		.amdhsa_ieee_mode 1
		.amdhsa_fp16_overflow 0
		.amdhsa_exception_fp_ieee_invalid_op 0
		.amdhsa_exception_fp_denorm_src 0
		.amdhsa_exception_fp_ieee_div_zero 0
		.amdhsa_exception_fp_ieee_overflow 0
		.amdhsa_exception_fp_ieee_underflow 0
		.amdhsa_exception_fp_ieee_inexact 0
		.amdhsa_exception_int_div_zero 0
	.end_amdhsa_kernel
	.section	.text._ZN7rocprim17ROCPRIM_400000_NS6detail17trampoline_kernelINS0_14default_configENS1_22reduce_config_selectorIN6thrust23THRUST_200600_302600_NS5tupleIbffNS6_9null_typeES8_S8_S8_S8_S8_S8_EEEEZNS1_11reduce_implILb1ES3_NS6_11hip_rocprim26transform_input_iterator_tIS9_NS6_12zip_iteratorINS7_INS6_17counting_iteratorIiNS6_11use_defaultESG_SG_EENS6_6detail15normal_iteratorINS6_10device_ptrIfEEEES8_S8_S8_S8_S8_S8_S8_S8_EEEE15transform_tupleIifEEEPS9_S9_12reduce_tupleIifEEE10hipError_tPvRmT1_T2_T3_mT4_P12ihipStream_tbEUlT_E0_NS1_11comp_targetILNS1_3genE3ELNS1_11target_archE908ELNS1_3gpuE7ELNS1_3repE0EEENS1_30default_config_static_selectorELNS0_4arch9wavefront6targetE1EEEvSY_,"axG",@progbits,_ZN7rocprim17ROCPRIM_400000_NS6detail17trampoline_kernelINS0_14default_configENS1_22reduce_config_selectorIN6thrust23THRUST_200600_302600_NS5tupleIbffNS6_9null_typeES8_S8_S8_S8_S8_S8_EEEEZNS1_11reduce_implILb1ES3_NS6_11hip_rocprim26transform_input_iterator_tIS9_NS6_12zip_iteratorINS7_INS6_17counting_iteratorIiNS6_11use_defaultESG_SG_EENS6_6detail15normal_iteratorINS6_10device_ptrIfEEEES8_S8_S8_S8_S8_S8_S8_S8_EEEE15transform_tupleIifEEEPS9_S9_12reduce_tupleIifEEE10hipError_tPvRmT1_T2_T3_mT4_P12ihipStream_tbEUlT_E0_NS1_11comp_targetILNS1_3genE3ELNS1_11target_archE908ELNS1_3gpuE7ELNS1_3repE0EEENS1_30default_config_static_selectorELNS0_4arch9wavefront6targetE1EEEvSY_,comdat
.Lfunc_end22:
	.size	_ZN7rocprim17ROCPRIM_400000_NS6detail17trampoline_kernelINS0_14default_configENS1_22reduce_config_selectorIN6thrust23THRUST_200600_302600_NS5tupleIbffNS6_9null_typeES8_S8_S8_S8_S8_S8_EEEEZNS1_11reduce_implILb1ES3_NS6_11hip_rocprim26transform_input_iterator_tIS9_NS6_12zip_iteratorINS7_INS6_17counting_iteratorIiNS6_11use_defaultESG_SG_EENS6_6detail15normal_iteratorINS6_10device_ptrIfEEEES8_S8_S8_S8_S8_S8_S8_S8_EEEE15transform_tupleIifEEEPS9_S9_12reduce_tupleIifEEE10hipError_tPvRmT1_T2_T3_mT4_P12ihipStream_tbEUlT_E0_NS1_11comp_targetILNS1_3genE3ELNS1_11target_archE908ELNS1_3gpuE7ELNS1_3repE0EEENS1_30default_config_static_selectorELNS0_4arch9wavefront6targetE1EEEvSY_, .Lfunc_end22-_ZN7rocprim17ROCPRIM_400000_NS6detail17trampoline_kernelINS0_14default_configENS1_22reduce_config_selectorIN6thrust23THRUST_200600_302600_NS5tupleIbffNS6_9null_typeES8_S8_S8_S8_S8_S8_EEEEZNS1_11reduce_implILb1ES3_NS6_11hip_rocprim26transform_input_iterator_tIS9_NS6_12zip_iteratorINS7_INS6_17counting_iteratorIiNS6_11use_defaultESG_SG_EENS6_6detail15normal_iteratorINS6_10device_ptrIfEEEES8_S8_S8_S8_S8_S8_S8_S8_EEEE15transform_tupleIifEEEPS9_S9_12reduce_tupleIifEEE10hipError_tPvRmT1_T2_T3_mT4_P12ihipStream_tbEUlT_E0_NS1_11comp_targetILNS1_3genE3ELNS1_11target_archE908ELNS1_3gpuE7ELNS1_3repE0EEENS1_30default_config_static_selectorELNS0_4arch9wavefront6targetE1EEEvSY_
                                        ; -- End function
	.set _ZN7rocprim17ROCPRIM_400000_NS6detail17trampoline_kernelINS0_14default_configENS1_22reduce_config_selectorIN6thrust23THRUST_200600_302600_NS5tupleIbffNS6_9null_typeES8_S8_S8_S8_S8_S8_EEEEZNS1_11reduce_implILb1ES3_NS6_11hip_rocprim26transform_input_iterator_tIS9_NS6_12zip_iteratorINS7_INS6_17counting_iteratorIiNS6_11use_defaultESG_SG_EENS6_6detail15normal_iteratorINS6_10device_ptrIfEEEES8_S8_S8_S8_S8_S8_S8_S8_EEEE15transform_tupleIifEEEPS9_S9_12reduce_tupleIifEEE10hipError_tPvRmT1_T2_T3_mT4_P12ihipStream_tbEUlT_E0_NS1_11comp_targetILNS1_3genE3ELNS1_11target_archE908ELNS1_3gpuE7ELNS1_3repE0EEENS1_30default_config_static_selectorELNS0_4arch9wavefront6targetE1EEEvSY_.num_vgpr, 0
	.set _ZN7rocprim17ROCPRIM_400000_NS6detail17trampoline_kernelINS0_14default_configENS1_22reduce_config_selectorIN6thrust23THRUST_200600_302600_NS5tupleIbffNS6_9null_typeES8_S8_S8_S8_S8_S8_EEEEZNS1_11reduce_implILb1ES3_NS6_11hip_rocprim26transform_input_iterator_tIS9_NS6_12zip_iteratorINS7_INS6_17counting_iteratorIiNS6_11use_defaultESG_SG_EENS6_6detail15normal_iteratorINS6_10device_ptrIfEEEES8_S8_S8_S8_S8_S8_S8_S8_EEEE15transform_tupleIifEEEPS9_S9_12reduce_tupleIifEEE10hipError_tPvRmT1_T2_T3_mT4_P12ihipStream_tbEUlT_E0_NS1_11comp_targetILNS1_3genE3ELNS1_11target_archE908ELNS1_3gpuE7ELNS1_3repE0EEENS1_30default_config_static_selectorELNS0_4arch9wavefront6targetE1EEEvSY_.num_agpr, 0
	.set _ZN7rocprim17ROCPRIM_400000_NS6detail17trampoline_kernelINS0_14default_configENS1_22reduce_config_selectorIN6thrust23THRUST_200600_302600_NS5tupleIbffNS6_9null_typeES8_S8_S8_S8_S8_S8_EEEEZNS1_11reduce_implILb1ES3_NS6_11hip_rocprim26transform_input_iterator_tIS9_NS6_12zip_iteratorINS7_INS6_17counting_iteratorIiNS6_11use_defaultESG_SG_EENS6_6detail15normal_iteratorINS6_10device_ptrIfEEEES8_S8_S8_S8_S8_S8_S8_S8_EEEE15transform_tupleIifEEEPS9_S9_12reduce_tupleIifEEE10hipError_tPvRmT1_T2_T3_mT4_P12ihipStream_tbEUlT_E0_NS1_11comp_targetILNS1_3genE3ELNS1_11target_archE908ELNS1_3gpuE7ELNS1_3repE0EEENS1_30default_config_static_selectorELNS0_4arch9wavefront6targetE1EEEvSY_.numbered_sgpr, 0
	.set _ZN7rocprim17ROCPRIM_400000_NS6detail17trampoline_kernelINS0_14default_configENS1_22reduce_config_selectorIN6thrust23THRUST_200600_302600_NS5tupleIbffNS6_9null_typeES8_S8_S8_S8_S8_S8_EEEEZNS1_11reduce_implILb1ES3_NS6_11hip_rocprim26transform_input_iterator_tIS9_NS6_12zip_iteratorINS7_INS6_17counting_iteratorIiNS6_11use_defaultESG_SG_EENS6_6detail15normal_iteratorINS6_10device_ptrIfEEEES8_S8_S8_S8_S8_S8_S8_S8_EEEE15transform_tupleIifEEEPS9_S9_12reduce_tupleIifEEE10hipError_tPvRmT1_T2_T3_mT4_P12ihipStream_tbEUlT_E0_NS1_11comp_targetILNS1_3genE3ELNS1_11target_archE908ELNS1_3gpuE7ELNS1_3repE0EEENS1_30default_config_static_selectorELNS0_4arch9wavefront6targetE1EEEvSY_.num_named_barrier, 0
	.set _ZN7rocprim17ROCPRIM_400000_NS6detail17trampoline_kernelINS0_14default_configENS1_22reduce_config_selectorIN6thrust23THRUST_200600_302600_NS5tupleIbffNS6_9null_typeES8_S8_S8_S8_S8_S8_EEEEZNS1_11reduce_implILb1ES3_NS6_11hip_rocprim26transform_input_iterator_tIS9_NS6_12zip_iteratorINS7_INS6_17counting_iteratorIiNS6_11use_defaultESG_SG_EENS6_6detail15normal_iteratorINS6_10device_ptrIfEEEES8_S8_S8_S8_S8_S8_S8_S8_EEEE15transform_tupleIifEEEPS9_S9_12reduce_tupleIifEEE10hipError_tPvRmT1_T2_T3_mT4_P12ihipStream_tbEUlT_E0_NS1_11comp_targetILNS1_3genE3ELNS1_11target_archE908ELNS1_3gpuE7ELNS1_3repE0EEENS1_30default_config_static_selectorELNS0_4arch9wavefront6targetE1EEEvSY_.private_seg_size, 0
	.set _ZN7rocprim17ROCPRIM_400000_NS6detail17trampoline_kernelINS0_14default_configENS1_22reduce_config_selectorIN6thrust23THRUST_200600_302600_NS5tupleIbffNS6_9null_typeES8_S8_S8_S8_S8_S8_EEEEZNS1_11reduce_implILb1ES3_NS6_11hip_rocprim26transform_input_iterator_tIS9_NS6_12zip_iteratorINS7_INS6_17counting_iteratorIiNS6_11use_defaultESG_SG_EENS6_6detail15normal_iteratorINS6_10device_ptrIfEEEES8_S8_S8_S8_S8_S8_S8_S8_EEEE15transform_tupleIifEEEPS9_S9_12reduce_tupleIifEEE10hipError_tPvRmT1_T2_T3_mT4_P12ihipStream_tbEUlT_E0_NS1_11comp_targetILNS1_3genE3ELNS1_11target_archE908ELNS1_3gpuE7ELNS1_3repE0EEENS1_30default_config_static_selectorELNS0_4arch9wavefront6targetE1EEEvSY_.uses_vcc, 0
	.set _ZN7rocprim17ROCPRIM_400000_NS6detail17trampoline_kernelINS0_14default_configENS1_22reduce_config_selectorIN6thrust23THRUST_200600_302600_NS5tupleIbffNS6_9null_typeES8_S8_S8_S8_S8_S8_EEEEZNS1_11reduce_implILb1ES3_NS6_11hip_rocprim26transform_input_iterator_tIS9_NS6_12zip_iteratorINS7_INS6_17counting_iteratorIiNS6_11use_defaultESG_SG_EENS6_6detail15normal_iteratorINS6_10device_ptrIfEEEES8_S8_S8_S8_S8_S8_S8_S8_EEEE15transform_tupleIifEEEPS9_S9_12reduce_tupleIifEEE10hipError_tPvRmT1_T2_T3_mT4_P12ihipStream_tbEUlT_E0_NS1_11comp_targetILNS1_3genE3ELNS1_11target_archE908ELNS1_3gpuE7ELNS1_3repE0EEENS1_30default_config_static_selectorELNS0_4arch9wavefront6targetE1EEEvSY_.uses_flat_scratch, 0
	.set _ZN7rocprim17ROCPRIM_400000_NS6detail17trampoline_kernelINS0_14default_configENS1_22reduce_config_selectorIN6thrust23THRUST_200600_302600_NS5tupleIbffNS6_9null_typeES8_S8_S8_S8_S8_S8_EEEEZNS1_11reduce_implILb1ES3_NS6_11hip_rocprim26transform_input_iterator_tIS9_NS6_12zip_iteratorINS7_INS6_17counting_iteratorIiNS6_11use_defaultESG_SG_EENS6_6detail15normal_iteratorINS6_10device_ptrIfEEEES8_S8_S8_S8_S8_S8_S8_S8_EEEE15transform_tupleIifEEEPS9_S9_12reduce_tupleIifEEE10hipError_tPvRmT1_T2_T3_mT4_P12ihipStream_tbEUlT_E0_NS1_11comp_targetILNS1_3genE3ELNS1_11target_archE908ELNS1_3gpuE7ELNS1_3repE0EEENS1_30default_config_static_selectorELNS0_4arch9wavefront6targetE1EEEvSY_.has_dyn_sized_stack, 0
	.set _ZN7rocprim17ROCPRIM_400000_NS6detail17trampoline_kernelINS0_14default_configENS1_22reduce_config_selectorIN6thrust23THRUST_200600_302600_NS5tupleIbffNS6_9null_typeES8_S8_S8_S8_S8_S8_EEEEZNS1_11reduce_implILb1ES3_NS6_11hip_rocprim26transform_input_iterator_tIS9_NS6_12zip_iteratorINS7_INS6_17counting_iteratorIiNS6_11use_defaultESG_SG_EENS6_6detail15normal_iteratorINS6_10device_ptrIfEEEES8_S8_S8_S8_S8_S8_S8_S8_EEEE15transform_tupleIifEEEPS9_S9_12reduce_tupleIifEEE10hipError_tPvRmT1_T2_T3_mT4_P12ihipStream_tbEUlT_E0_NS1_11comp_targetILNS1_3genE3ELNS1_11target_archE908ELNS1_3gpuE7ELNS1_3repE0EEENS1_30default_config_static_selectorELNS0_4arch9wavefront6targetE1EEEvSY_.has_recursion, 0
	.set _ZN7rocprim17ROCPRIM_400000_NS6detail17trampoline_kernelINS0_14default_configENS1_22reduce_config_selectorIN6thrust23THRUST_200600_302600_NS5tupleIbffNS6_9null_typeES8_S8_S8_S8_S8_S8_EEEEZNS1_11reduce_implILb1ES3_NS6_11hip_rocprim26transform_input_iterator_tIS9_NS6_12zip_iteratorINS7_INS6_17counting_iteratorIiNS6_11use_defaultESG_SG_EENS6_6detail15normal_iteratorINS6_10device_ptrIfEEEES8_S8_S8_S8_S8_S8_S8_S8_EEEE15transform_tupleIifEEEPS9_S9_12reduce_tupleIifEEE10hipError_tPvRmT1_T2_T3_mT4_P12ihipStream_tbEUlT_E0_NS1_11comp_targetILNS1_3genE3ELNS1_11target_archE908ELNS1_3gpuE7ELNS1_3repE0EEENS1_30default_config_static_selectorELNS0_4arch9wavefront6targetE1EEEvSY_.has_indirect_call, 0
	.section	.AMDGPU.csdata,"",@progbits
; Kernel info:
; codeLenInByte = 0
; TotalNumSgprs: 4
; NumVgprs: 0
; ScratchSize: 0
; MemoryBound: 0
; FloatMode: 240
; IeeeMode: 1
; LDSByteSize: 0 bytes/workgroup (compile time only)
; SGPRBlocks: 0
; VGPRBlocks: 0
; NumSGPRsForWavesPerEU: 4
; NumVGPRsForWavesPerEU: 1
; Occupancy: 10
; WaveLimiterHint : 0
; COMPUTE_PGM_RSRC2:SCRATCH_EN: 0
; COMPUTE_PGM_RSRC2:USER_SGPR: 6
; COMPUTE_PGM_RSRC2:TRAP_HANDLER: 0
; COMPUTE_PGM_RSRC2:TGID_X_EN: 1
; COMPUTE_PGM_RSRC2:TGID_Y_EN: 0
; COMPUTE_PGM_RSRC2:TGID_Z_EN: 0
; COMPUTE_PGM_RSRC2:TIDIG_COMP_CNT: 0
	.section	.text._ZN7rocprim17ROCPRIM_400000_NS6detail17trampoline_kernelINS0_14default_configENS1_22reduce_config_selectorIN6thrust23THRUST_200600_302600_NS5tupleIbffNS6_9null_typeES8_S8_S8_S8_S8_S8_EEEEZNS1_11reduce_implILb1ES3_NS6_11hip_rocprim26transform_input_iterator_tIS9_NS6_12zip_iteratorINS7_INS6_17counting_iteratorIiNS6_11use_defaultESG_SG_EENS6_6detail15normal_iteratorINS6_10device_ptrIfEEEES8_S8_S8_S8_S8_S8_S8_S8_EEEE15transform_tupleIifEEEPS9_S9_12reduce_tupleIifEEE10hipError_tPvRmT1_T2_T3_mT4_P12ihipStream_tbEUlT_E0_NS1_11comp_targetILNS1_3genE2ELNS1_11target_archE906ELNS1_3gpuE6ELNS1_3repE0EEENS1_30default_config_static_selectorELNS0_4arch9wavefront6targetE1EEEvSY_,"axG",@progbits,_ZN7rocprim17ROCPRIM_400000_NS6detail17trampoline_kernelINS0_14default_configENS1_22reduce_config_selectorIN6thrust23THRUST_200600_302600_NS5tupleIbffNS6_9null_typeES8_S8_S8_S8_S8_S8_EEEEZNS1_11reduce_implILb1ES3_NS6_11hip_rocprim26transform_input_iterator_tIS9_NS6_12zip_iteratorINS7_INS6_17counting_iteratorIiNS6_11use_defaultESG_SG_EENS6_6detail15normal_iteratorINS6_10device_ptrIfEEEES8_S8_S8_S8_S8_S8_S8_S8_EEEE15transform_tupleIifEEEPS9_S9_12reduce_tupleIifEEE10hipError_tPvRmT1_T2_T3_mT4_P12ihipStream_tbEUlT_E0_NS1_11comp_targetILNS1_3genE2ELNS1_11target_archE906ELNS1_3gpuE6ELNS1_3repE0EEENS1_30default_config_static_selectorELNS0_4arch9wavefront6targetE1EEEvSY_,comdat
	.protected	_ZN7rocprim17ROCPRIM_400000_NS6detail17trampoline_kernelINS0_14default_configENS1_22reduce_config_selectorIN6thrust23THRUST_200600_302600_NS5tupleIbffNS6_9null_typeES8_S8_S8_S8_S8_S8_EEEEZNS1_11reduce_implILb1ES3_NS6_11hip_rocprim26transform_input_iterator_tIS9_NS6_12zip_iteratorINS7_INS6_17counting_iteratorIiNS6_11use_defaultESG_SG_EENS6_6detail15normal_iteratorINS6_10device_ptrIfEEEES8_S8_S8_S8_S8_S8_S8_S8_EEEE15transform_tupleIifEEEPS9_S9_12reduce_tupleIifEEE10hipError_tPvRmT1_T2_T3_mT4_P12ihipStream_tbEUlT_E0_NS1_11comp_targetILNS1_3genE2ELNS1_11target_archE906ELNS1_3gpuE6ELNS1_3repE0EEENS1_30default_config_static_selectorELNS0_4arch9wavefront6targetE1EEEvSY_ ; -- Begin function _ZN7rocprim17ROCPRIM_400000_NS6detail17trampoline_kernelINS0_14default_configENS1_22reduce_config_selectorIN6thrust23THRUST_200600_302600_NS5tupleIbffNS6_9null_typeES8_S8_S8_S8_S8_S8_EEEEZNS1_11reduce_implILb1ES3_NS6_11hip_rocprim26transform_input_iterator_tIS9_NS6_12zip_iteratorINS7_INS6_17counting_iteratorIiNS6_11use_defaultESG_SG_EENS6_6detail15normal_iteratorINS6_10device_ptrIfEEEES8_S8_S8_S8_S8_S8_S8_S8_EEEE15transform_tupleIifEEEPS9_S9_12reduce_tupleIifEEE10hipError_tPvRmT1_T2_T3_mT4_P12ihipStream_tbEUlT_E0_NS1_11comp_targetILNS1_3genE2ELNS1_11target_archE906ELNS1_3gpuE6ELNS1_3repE0EEENS1_30default_config_static_selectorELNS0_4arch9wavefront6targetE1EEEvSY_
	.globl	_ZN7rocprim17ROCPRIM_400000_NS6detail17trampoline_kernelINS0_14default_configENS1_22reduce_config_selectorIN6thrust23THRUST_200600_302600_NS5tupleIbffNS6_9null_typeES8_S8_S8_S8_S8_S8_EEEEZNS1_11reduce_implILb1ES3_NS6_11hip_rocprim26transform_input_iterator_tIS9_NS6_12zip_iteratorINS7_INS6_17counting_iteratorIiNS6_11use_defaultESG_SG_EENS6_6detail15normal_iteratorINS6_10device_ptrIfEEEES8_S8_S8_S8_S8_S8_S8_S8_EEEE15transform_tupleIifEEEPS9_S9_12reduce_tupleIifEEE10hipError_tPvRmT1_T2_T3_mT4_P12ihipStream_tbEUlT_E0_NS1_11comp_targetILNS1_3genE2ELNS1_11target_archE906ELNS1_3gpuE6ELNS1_3repE0EEENS1_30default_config_static_selectorELNS0_4arch9wavefront6targetE1EEEvSY_
	.p2align	8
	.type	_ZN7rocprim17ROCPRIM_400000_NS6detail17trampoline_kernelINS0_14default_configENS1_22reduce_config_selectorIN6thrust23THRUST_200600_302600_NS5tupleIbffNS6_9null_typeES8_S8_S8_S8_S8_S8_EEEEZNS1_11reduce_implILb1ES3_NS6_11hip_rocprim26transform_input_iterator_tIS9_NS6_12zip_iteratorINS7_INS6_17counting_iteratorIiNS6_11use_defaultESG_SG_EENS6_6detail15normal_iteratorINS6_10device_ptrIfEEEES8_S8_S8_S8_S8_S8_S8_S8_EEEE15transform_tupleIifEEEPS9_S9_12reduce_tupleIifEEE10hipError_tPvRmT1_T2_T3_mT4_P12ihipStream_tbEUlT_E0_NS1_11comp_targetILNS1_3genE2ELNS1_11target_archE906ELNS1_3gpuE6ELNS1_3repE0EEENS1_30default_config_static_selectorELNS0_4arch9wavefront6targetE1EEEvSY_,@function
_ZN7rocprim17ROCPRIM_400000_NS6detail17trampoline_kernelINS0_14default_configENS1_22reduce_config_selectorIN6thrust23THRUST_200600_302600_NS5tupleIbffNS6_9null_typeES8_S8_S8_S8_S8_S8_EEEEZNS1_11reduce_implILb1ES3_NS6_11hip_rocprim26transform_input_iterator_tIS9_NS6_12zip_iteratorINS7_INS6_17counting_iteratorIiNS6_11use_defaultESG_SG_EENS6_6detail15normal_iteratorINS6_10device_ptrIfEEEES8_S8_S8_S8_S8_S8_S8_S8_EEEE15transform_tupleIifEEEPS9_S9_12reduce_tupleIifEEE10hipError_tPvRmT1_T2_T3_mT4_P12ihipStream_tbEUlT_E0_NS1_11comp_targetILNS1_3genE2ELNS1_11target_archE906ELNS1_3gpuE6ELNS1_3repE0EEENS1_30default_config_static_selectorELNS0_4arch9wavefront6targetE1EEEvSY_: ; @_ZN7rocprim17ROCPRIM_400000_NS6detail17trampoline_kernelINS0_14default_configENS1_22reduce_config_selectorIN6thrust23THRUST_200600_302600_NS5tupleIbffNS6_9null_typeES8_S8_S8_S8_S8_S8_EEEEZNS1_11reduce_implILb1ES3_NS6_11hip_rocprim26transform_input_iterator_tIS9_NS6_12zip_iteratorINS7_INS6_17counting_iteratorIiNS6_11use_defaultESG_SG_EENS6_6detail15normal_iteratorINS6_10device_ptrIfEEEES8_S8_S8_S8_S8_S8_S8_S8_EEEE15transform_tupleIifEEEPS9_S9_12reduce_tupleIifEEE10hipError_tPvRmT1_T2_T3_mT4_P12ihipStream_tbEUlT_E0_NS1_11comp_targetILNS1_3genE2ELNS1_11target_archE906ELNS1_3gpuE6ELNS1_3repE0EEENS1_30default_config_static_selectorELNS0_4arch9wavefront6targetE1EEEvSY_
; %bb.0:
	s_load_dwordx8 s[8:15], s[4:5], 0x18
	s_load_dwordx4 s[16:19], s[4:5], 0x8
	s_load_dword s2, s[4:5], 0x0
	s_load_dwordx2 s[20:21], s[4:5], 0x38
	v_lshlrev_b32_e32 v5, 2, v0
	s_waitcnt lgkmcnt(0)
	s_lshl_b64 s[0:1], s[8:9], 2
	s_add_u32 s9, s16, s0
	s_addc_u32 s22, s17, s1
	s_lshl_b32 s16, s6, 8
	s_mov_b32 s17, 0
	s_add_i32 s24, s2, s16
	s_lshr_b64 s[0:1], s[10:11], 8
	s_add_i32 s24, s24, s8
	s_lshl_b64 s[2:3], s[16:17], 2
	s_add_u32 s8, s9, s2
	s_mov_b32 s7, s17
	s_addc_u32 s9, s22, s3
	s_cmp_lg_u64 s[0:1], s[6:7]
	s_cbranch_scc0 .LBB23_54
; %bb.1:
	global_load_dword v1, v5, s[8:9]
	global_load_dword v2, v5, s[8:9] offset:512
	s_abs_i32 s2, s19
	v_cvt_f32_u32_e32 v3, s2
	s_sub_i32 s0, 0, s2
	v_add_u32_e32 v6, s24, v0
	v_sub_u32_e32 v7, 0, v6
	v_rcp_iflag_f32_e32 v3, v3
	v_max_i32_e32 v7, v6, v7
	v_ashrrev_i32_e32 v8, 31, v6
	v_add_u32_e32 v9, 0x80, v6
	v_mul_f32_e32 v3, 0x4f7ffffe, v3
	v_cvt_u32_f32_e32 v3, v3
	v_sub_u32_e32 v6, 0xffffff80, v6
	v_max_i32_e32 v6, v9, v6
	v_mul_lo_u32 v4, s0, v3
	v_mul_hi_u32 v4, v3, v4
	v_add_u32_e32 v3, v3, v4
	v_mul_hi_u32 v4, v7, v3
	v_mul_hi_u32 v3, v6, v3
	v_mul_lo_u32 v4, v4, s2
	v_mul_lo_u32 v3, v3, s2
	v_sub_u32_e32 v4, v7, v4
	v_subrev_u32_e32 v7, s2, v4
	v_cmp_le_u32_e32 vcc, s2, v4
	v_cndmask_b32_e32 v4, v4, v7, vcc
	v_subrev_u32_e32 v7, s2, v4
	v_cmp_le_u32_e32 vcc, s2, v4
	v_sub_u32_e32 v3, v6, v3
	v_cndmask_b32_e32 v4, v4, v7, vcc
	v_subrev_u32_e32 v6, s2, v3
	v_cmp_le_u32_e64 s[0:1], s2, v3
	v_xor_b32_e32 v4, v4, v8
	v_cndmask_b32_e64 v3, v3, v6, s[0:1]
	v_sub_u32_e32 v4, v4, v8
	v_subrev_u32_e32 v6, s2, v3
	v_cmp_le_u32_e64 s[0:1], s2, v3
	v_cmp_le_i32_e32 vcc, s18, v4
	v_ashrrev_i32_e32 v4, 31, v9
	v_cndmask_b32_e64 v3, v3, v6, s[0:1]
	v_xor_b32_e32 v3, v3, v4
	v_sub_u32_e32 v3, v3, v4
	v_cmp_le_i32_e64 s[2:3], s18, v3
	v_cmp_gt_i32_e64 s[0:1], s18, v3
	s_or_b64 s[2:3], vcc, s[2:3]
                                        ; implicit-def: $vgpr6
	s_and_saveexec_b64 s[22:23], s[2:3]
	s_xor_b64 s[2:3], exec, s[22:23]
	s_cbranch_execz .LBB23_5
; %bb.2:
	v_mov_b32_e32 v6, 1
	s_and_saveexec_b64 s[22:23], vcc
	s_cbranch_execz .LBB23_4
; %bb.3:
	v_cndmask_b32_e64 v6, 0, 1, s[0:1]
	s_waitcnt vmcnt(0)
	v_mov_b32_e32 v1, v2
.LBB23_4:
	s_or_b64 exec, exec, s[22:23]
                                        ; implicit-def: $vgpr2
.LBB23_5:
	s_or_saveexec_b64 s[0:1], s[2:3]
	s_waitcnt vmcnt(1)
	v_mov_b32_e32 v4, v1
	s_xor_b64 exec, exec, s[0:1]
	s_cbranch_execz .LBB23_7
; %bb.6:
	s_waitcnt vmcnt(0)
	v_cmp_lt_f32_e32 vcc, v2, v1
	v_cndmask_b32_e32 v3, v1, v2, vcc
	v_cmp_lt_f32_e32 vcc, v1, v2
	v_cndmask_b32_e32 v4, v1, v2, vcc
	v_mov_b32_e32 v6, 1
	v_mov_b32_e32 v1, v3
.LBB23_7:
	s_or_b64 exec, exec, s[0:1]
	v_and_b32_e32 v7, 0xff, v6
	v_and_b32_e32 v6, 1, v6
	v_cmp_eq_u32_e64 s[0:1], 1, v6
	v_mov_b32_dpp v8, v7 quad_perm:[1,0,3,2] row_mask:0xf bank_mask:0xf bound_ctrl:1
	v_and_b32_e32 v8, 1, v8
	v_cmp_eq_u32_e32 vcc, 1, v8
	s_and_b64 s[0:1], vcc, s[0:1]
	s_waitcnt vmcnt(0)
	v_mov_b32_dpp v2, v1 quad_perm:[1,0,3,2] row_mask:0xf bank_mask:0xf bound_ctrl:1
	v_mov_b32_dpp v3, v4 quad_perm:[1,0,3,2] row_mask:0xf bank_mask:0xf bound_ctrl:1
	s_xor_b64 s[0:1], s[0:1], -1
                                        ; implicit-def: $vgpr6
	s_and_saveexec_b64 s[2:3], s[0:1]
	s_xor_b64 s[0:1], exec, s[2:3]
	s_cbranch_execz .LBB23_11
; %bb.8:
	s_xor_b64 s[22:23], vcc, -1
	v_mov_b32_e32 v6, 1
	s_and_saveexec_b64 s[2:3], s[22:23]
; %bb.9:
	v_mov_b32_e32 v3, v4
	v_mov_b32_e32 v2, v1
	;; [unrolled: 1-line block ×3, first 2 shown]
; %bb.10:
	s_or_b64 exec, exec, s[2:3]
                                        ; implicit-def: $vgpr1
                                        ; implicit-def: $vgpr4
.LBB23_11:
	s_andn2_saveexec_b64 s[0:1], s[0:1]
; %bb.12:
	v_cmp_lt_f32_e32 vcc, v1, v2
	v_cndmask_b32_e32 v2, v2, v1, vcc
	v_cmp_gt_f32_e32 vcc, v4, v3
	v_cndmask_b32_e32 v3, v3, v4, vcc
	v_mov_b32_e32 v6, 1
; %bb.13:
	s_or_b64 exec, exec, s[0:1]
	s_nop 0
	v_mov_b32_dpp v7, v6 quad_perm:[2,3,0,1] row_mask:0xf bank_mask:0xf bound_ctrl:1
	v_and_b32_e32 v8, 1, v7
	v_and_b32_e32 v7, v7, v6
	;; [unrolled: 1-line block ×3, first 2 shown]
	v_mov_b32_dpp v1, v2 quad_perm:[2,3,0,1] row_mask:0xf bank_mask:0xf bound_ctrl:1
	v_mov_b32_dpp v4, v3 quad_perm:[2,3,0,1] row_mask:0xf bank_mask:0xf bound_ctrl:1
	v_cmp_ne_u32_e32 vcc, 1, v8
	v_cmp_ne_u32_e64 s[0:1], 1, v7
                                        ; implicit-def: $vgpr7
	s_and_saveexec_b64 s[2:3], s[0:1]
	s_xor_b64 s[0:1], exec, s[2:3]
	s_cbranch_execz .LBB23_17
; %bb.14:
	v_mov_b32_e32 v7, 1
	s_and_saveexec_b64 s[2:3], vcc
; %bb.15:
	v_mov_b32_e32 v4, v3
	v_mov_b32_e32 v1, v2
	;; [unrolled: 1-line block ×3, first 2 shown]
; %bb.16:
	s_or_b64 exec, exec, s[2:3]
                                        ; implicit-def: $vgpr2
                                        ; implicit-def: $vgpr3
.LBB23_17:
	s_andn2_saveexec_b64 s[0:1], s[0:1]
; %bb.18:
	v_cmp_lt_f32_e32 vcc, v2, v1
	v_cndmask_b32_e32 v1, v1, v2, vcc
	v_cmp_gt_f32_e32 vcc, v3, v4
	v_cndmask_b32_e32 v4, v4, v3, vcc
	v_mov_b32_e32 v7, 1
; %bb.19:
	s_or_b64 exec, exec, s[0:1]
	s_nop 0
	v_mov_b32_dpp v6, v7 row_ror:4 row_mask:0xf bank_mask:0xf bound_ctrl:1
	v_and_b32_e32 v8, 1, v6
	v_and_b32_e32 v6, v6, v7
	;; [unrolled: 1-line block ×3, first 2 shown]
	v_mov_b32_dpp v2, v1 row_ror:4 row_mask:0xf bank_mask:0xf bound_ctrl:1
	v_mov_b32_dpp v3, v4 row_ror:4 row_mask:0xf bank_mask:0xf bound_ctrl:1
	v_cmp_ne_u32_e32 vcc, 1, v8
	v_cmp_ne_u32_e64 s[0:1], 1, v6
                                        ; implicit-def: $vgpr6
	s_and_saveexec_b64 s[2:3], s[0:1]
	s_xor_b64 s[0:1], exec, s[2:3]
	s_cbranch_execz .LBB23_23
; %bb.20:
	v_mov_b32_e32 v6, 1
	s_and_saveexec_b64 s[2:3], vcc
; %bb.21:
	v_mov_b32_e32 v3, v4
	v_mov_b32_e32 v2, v1
	;; [unrolled: 1-line block ×3, first 2 shown]
; %bb.22:
	s_or_b64 exec, exec, s[2:3]
                                        ; implicit-def: $vgpr1
                                        ; implicit-def: $vgpr4
.LBB23_23:
	s_andn2_saveexec_b64 s[0:1], s[0:1]
; %bb.24:
	v_cmp_lt_f32_e32 vcc, v1, v2
	v_cndmask_b32_e32 v2, v2, v1, vcc
	v_cmp_gt_f32_e32 vcc, v4, v3
	v_cndmask_b32_e32 v3, v3, v4, vcc
	v_mov_b32_e32 v6, 1
; %bb.25:
	s_or_b64 exec, exec, s[0:1]
	s_nop 0
	v_mov_b32_dpp v7, v6 row_ror:8 row_mask:0xf bank_mask:0xf bound_ctrl:1
	v_and_b32_e32 v8, 1, v7
	v_and_b32_e32 v7, v7, v6
	;; [unrolled: 1-line block ×3, first 2 shown]
	v_mov_b32_dpp v1, v2 row_ror:8 row_mask:0xf bank_mask:0xf bound_ctrl:1
	v_mov_b32_dpp v4, v3 row_ror:8 row_mask:0xf bank_mask:0xf bound_ctrl:1
	v_cmp_ne_u32_e32 vcc, 1, v8
	v_cmp_ne_u32_e64 s[0:1], 1, v7
                                        ; implicit-def: $vgpr7
	s_and_saveexec_b64 s[2:3], s[0:1]
	s_xor_b64 s[0:1], exec, s[2:3]
	s_cbranch_execz .LBB23_29
; %bb.26:
	v_mov_b32_e32 v7, 1
	s_and_saveexec_b64 s[2:3], vcc
; %bb.27:
	v_mov_b32_e32 v4, v3
	v_mov_b32_e32 v1, v2
	;; [unrolled: 1-line block ×3, first 2 shown]
; %bb.28:
	s_or_b64 exec, exec, s[2:3]
                                        ; implicit-def: $vgpr2
                                        ; implicit-def: $vgpr3
.LBB23_29:
	s_andn2_saveexec_b64 s[0:1], s[0:1]
; %bb.30:
	v_cmp_lt_f32_e32 vcc, v2, v1
	v_cndmask_b32_e32 v1, v1, v2, vcc
	v_cmp_gt_f32_e32 vcc, v3, v4
	v_cndmask_b32_e32 v4, v4, v3, vcc
	v_mov_b32_e32 v7, 1
; %bb.31:
	s_or_b64 exec, exec, s[0:1]
	s_nop 0
	v_mov_b32_dpp v6, v7 row_bcast:15 row_mask:0xf bank_mask:0xf bound_ctrl:1
	v_and_b32_e32 v8, 1, v6
	v_and_b32_e32 v6, v6, v7
	;; [unrolled: 1-line block ×3, first 2 shown]
	v_mov_b32_dpp v2, v1 row_bcast:15 row_mask:0xf bank_mask:0xf bound_ctrl:1
	v_mov_b32_dpp v3, v4 row_bcast:15 row_mask:0xf bank_mask:0xf bound_ctrl:1
	v_cmp_ne_u32_e32 vcc, 1, v8
	v_cmp_ne_u32_e64 s[0:1], 1, v6
                                        ; implicit-def: $vgpr6
	s_and_saveexec_b64 s[2:3], s[0:1]
	s_xor_b64 s[0:1], exec, s[2:3]
	s_cbranch_execz .LBB23_35
; %bb.32:
	v_mov_b32_e32 v6, 1
	s_and_saveexec_b64 s[2:3], vcc
; %bb.33:
	v_mov_b32_e32 v3, v4
	v_mov_b32_e32 v2, v1
	;; [unrolled: 1-line block ×3, first 2 shown]
; %bb.34:
	s_or_b64 exec, exec, s[2:3]
                                        ; implicit-def: $vgpr1
                                        ; implicit-def: $vgpr4
.LBB23_35:
	s_andn2_saveexec_b64 s[0:1], s[0:1]
; %bb.36:
	v_cmp_lt_f32_e32 vcc, v1, v2
	v_cndmask_b32_e32 v2, v2, v1, vcc
	v_cmp_gt_f32_e32 vcc, v4, v3
	v_cndmask_b32_e32 v3, v3, v4, vcc
	v_mov_b32_e32 v6, 1
; %bb.37:
	s_or_b64 exec, exec, s[0:1]
	s_nop 0
	v_mov_b32_dpp v7, v6 row_bcast:31 row_mask:0xf bank_mask:0xf bound_ctrl:1
	v_and_b32_e32 v8, 1, v7
	v_and_b32_e32 v7, v7, v6
	v_and_b32_e32 v7, 1, v7
	v_mov_b32_dpp v1, v2 row_bcast:31 row_mask:0xf bank_mask:0xf bound_ctrl:1
	v_mov_b32_dpp v4, v3 row_bcast:31 row_mask:0xf bank_mask:0xf bound_ctrl:1
	v_cmp_ne_u32_e32 vcc, 1, v8
	v_cmp_ne_u32_e64 s[0:1], 1, v7
                                        ; implicit-def: $vgpr7
	s_and_saveexec_b64 s[2:3], s[0:1]
	s_xor_b64 s[0:1], exec, s[2:3]
	s_cbranch_execz .LBB23_41
; %bb.38:
	v_mov_b32_e32 v7, 1
	s_and_saveexec_b64 s[2:3], vcc
; %bb.39:
	v_mov_b32_e32 v4, v3
	v_mov_b32_e32 v1, v2
	;; [unrolled: 1-line block ×3, first 2 shown]
; %bb.40:
	s_or_b64 exec, exec, s[2:3]
                                        ; implicit-def: $vgpr2
                                        ; implicit-def: $vgpr3
.LBB23_41:
	s_andn2_saveexec_b64 s[0:1], s[0:1]
; %bb.42:
	v_cmp_lt_f32_e32 vcc, v2, v1
	v_cndmask_b32_e32 v1, v1, v2, vcc
	v_cmp_gt_f32_e32 vcc, v3, v4
	v_cndmask_b32_e32 v4, v4, v3, vcc
	v_mov_b32_e32 v7, 1
; %bb.43:
	s_or_b64 exec, exec, s[0:1]
	v_mbcnt_lo_u32_b32 v2, -1, 0
	v_mbcnt_hi_u32_b32 v3, -1, v2
	v_lshlrev_b32_e32 v9, 2, v3
	v_or_b32_e32 v2, 0xfc, v9
	ds_bpermute_b32 v6, v2, v7
	ds_bpermute_b32 v1, v2, v1
	;; [unrolled: 1-line block ×3, first 2 shown]
	v_cmp_eq_u32_e32 vcc, 0, v3
	s_and_saveexec_b64 s[0:1], vcc
	s_cbranch_execz .LBB23_45
; %bb.44:
	v_lshrrev_b32_e32 v4, 6, v0
	v_mul_u32_u24_e32 v4, 12, v4
	s_waitcnt lgkmcnt(2)
	ds_write_b8 v4, v6 offset:32
	s_waitcnt lgkmcnt(1)
	ds_write2_b32 v4, v1, v2 offset0:9 offset1:10
.LBB23_45:
	s_or_b64 exec, exec, s[0:1]
	v_cmp_gt_u32_e32 vcc, 64, v0
	s_waitcnt lgkmcnt(0)
	s_barrier
	s_and_saveexec_b64 s[0:1], vcc
	s_cbranch_execz .LBB23_53
; %bb.46:
	v_and_b32_e32 v1, 1, v3
	v_mul_u32_u24_e32 v1, 12, v1
	ds_read_u8 v8, v1 offset:32
	ds_read2_b32 v[3:4], v1 offset0:9 offset1:10
	v_or_b32_e32 v2, 4, v9
	s_waitcnt lgkmcnt(1)
	v_and_b32_e32 v1, 0xff, v8
	ds_bpermute_b32 v7, v2, v1
	s_waitcnt lgkmcnt(1)
	ds_bpermute_b32 v1, v2, v3
	ds_bpermute_b32 v2, v2, v4
	s_waitcnt lgkmcnt(2)
	v_and_b32_e32 v6, v8, v7
	v_and_b32_e32 v6, 1, v6
	v_cmp_eq_u32_e32 vcc, 1, v6
	s_and_saveexec_b64 s[2:3], vcc
	s_xor_b64 s[2:3], exec, s[2:3]
	s_cbranch_execz .LBB23_48
; %bb.47:
	s_waitcnt lgkmcnt(1)
	v_cmp_gt_f32_e32 vcc, v3, v1
	v_cndmask_b32_e32 v1, v3, v1, vcc
	s_waitcnt lgkmcnt(0)
	v_cmp_lt_f32_e32 vcc, v4, v2
	v_cndmask_b32_e32 v2, v4, v2, vcc
                                        ; implicit-def: $vgpr4
                                        ; implicit-def: $vgpr7
                                        ; implicit-def: $vgpr8
.LBB23_48:
	s_or_saveexec_b64 s[2:3], s[2:3]
	v_mov_b32_e32 v6, 1
	s_xor_b64 exec, exec, s[2:3]
	s_cbranch_execz .LBB23_52
; %bb.49:
	v_and_b32_e32 v6, 1, v8
	v_cmp_eq_u32_e32 vcc, 1, v6
	s_and_saveexec_b64 s[22:23], vcc
	s_cbranch_execz .LBB23_51
; %bb.50:
	v_mov_b32_e32 v7, 1
	s_waitcnt lgkmcnt(0)
	v_mov_b32_e32 v2, v4
	v_mov_b32_e32 v1, v3
.LBB23_51:
	s_or_b64 exec, exec, s[22:23]
	v_mov_b32_e32 v6, v7
.LBB23_52:
	s_or_b64 exec, exec, s[2:3]
.LBB23_53:
	s_or_b64 exec, exec, s[0:1]
	s_load_dword s7, s[4:5], 0x40
	s_load_dwordx2 s[2:3], s[4:5], 0x44
	s_branch .LBB23_128
.LBB23_54:
                                        ; implicit-def: $vgpr2
                                        ; implicit-def: $vgpr6
	s_load_dword s7, s[4:5], 0x40
	s_load_dwordx2 s[2:3], s[4:5], 0x44
	s_cbranch_execz .LBB23_128
; %bb.55:
	s_sub_i32 s16, s10, s16
	v_cmp_gt_u32_e32 vcc, s16, v0
	v_mov_b32_e32 v7, 0
	v_mov_b32_e32 v3, 0
	s_waitcnt lgkmcnt(0)
	v_mov_b32_e32 v1, 0
	s_and_saveexec_b64 s[0:1], vcc
	s_cbranch_execz .LBB23_57
; %bb.56:
	global_load_dword v1, v5, s[8:9]
	s_abs_i32 s4, s19
	v_cvt_f32_u32_e32 v2, s4
	s_sub_i32 s5, 0, s4
	v_add_u32_e32 v6, s24, v0
	v_sub_u32_e32 v7, 0, v6
	v_rcp_iflag_f32_e32 v2, v2
	v_max_i32_e32 v7, v6, v7
	v_mul_f32_e32 v2, 0x4f7ffffe, v2
	v_cvt_u32_f32_e32 v2, v2
	v_mul_lo_u32 v4, s5, v2
	v_mul_hi_u32 v4, v2, v4
	v_add_u32_e32 v2, v2, v4
	v_mul_hi_u32 v2, v7, v2
	v_ashrrev_i32_e32 v4, 31, v6
	v_mul_lo_u32 v2, v2, s4
	v_sub_u32_e32 v2, v7, v2
	v_subrev_u32_e32 v6, s4, v2
	v_cmp_le_u32_e32 vcc, s4, v2
	v_cndmask_b32_e32 v2, v2, v6, vcc
	v_subrev_u32_e32 v6, s4, v2
	v_cmp_le_u32_e32 vcc, s4, v2
	v_cndmask_b32_e32 v2, v2, v6, vcc
	v_xor_b32_e32 v2, v2, v4
	v_sub_u32_e32 v2, v2, v4
	v_cmp_gt_i32_e32 vcc, s18, v2
	v_cndmask_b32_e64 v7, 0, 1, vcc
.LBB23_57:
	s_or_b64 exec, exec, s[0:1]
	v_or_b32_e32 v2, 0x80, v0
	v_cmp_gt_u32_e32 vcc, s16, v2
	v_mov_b32_e32 v4, 0
	s_and_saveexec_b64 s[4:5], vcc
	s_cbranch_execz .LBB23_59
; %bb.58:
	global_load_dword v3, v5, s[8:9] offset:512
	s_abs_i32 s8, s19
	v_cvt_f32_u32_e32 v4, s8
	s_sub_i32 s0, 0, s8
	v_add_u32_e32 v2, s24, v2
	v_sub_u32_e32 v6, 0, v2
	v_rcp_iflag_f32_e32 v4, v4
	v_max_i32_e32 v6, v2, v6
	v_ashrrev_i32_e32 v2, 31, v2
	v_mul_f32_e32 v4, 0x4f7ffffe, v4
	v_cvt_u32_f32_e32 v4, v4
	v_mul_lo_u32 v5, s0, v4
	v_mul_hi_u32 v5, v4, v5
	v_add_u32_e32 v4, v4, v5
	v_mul_hi_u32 v4, v6, v4
	v_mul_lo_u32 v4, v4, s8
	v_sub_u32_e32 v4, v6, v4
	v_subrev_u32_e32 v5, s8, v4
	v_cmp_le_u32_e64 s[0:1], s8, v4
	v_cndmask_b32_e64 v4, v4, v5, s[0:1]
	v_subrev_u32_e32 v5, s8, v4
	v_cmp_le_u32_e64 s[0:1], s8, v4
	v_cndmask_b32_e64 v4, v4, v5, s[0:1]
	v_xor_b32_e32 v4, v4, v2
	v_sub_u32_e32 v2, v4, v2
	v_cmp_gt_i32_e64 s[0:1], s18, v2
	v_cndmask_b32_e64 v4, 0, 1, s[0:1]
.LBB23_59:
	s_or_b64 exec, exec, s[4:5]
	s_waitcnt vmcnt(0)
	v_mov_b32_e32 v2, v1
	s_and_saveexec_b64 s[4:5], vcc
	s_cbranch_execz .LBB23_67
; %bb.60:
	v_and_b32_e32 v2, 1, v7
	v_cmp_eq_u32_e32 vcc, 1, v2
	v_and_b32_e32 v2, v7, v4
	v_and_b32_e32 v2, 1, v2
	v_cmp_eq_u32_e64 s[0:1], 1, v2
	s_xor_b64 s[0:1], s[0:1], -1
                                        ; implicit-def: $vgpr7
	s_and_saveexec_b64 s[8:9], s[0:1]
	s_xor_b64 s[0:1], exec, s[8:9]
	s_cbranch_execz .LBB23_64
; %bb.61:
	s_xor_b64 s[18:19], vcc, -1
	v_mov_b32_e32 v7, 1
	s_and_saveexec_b64 s[8:9], s[18:19]
; %bb.62:
	v_mov_b32_e32 v1, v3
	v_mov_b32_e32 v7, v4
; %bb.63:
	s_or_b64 exec, exec, s[8:9]
                                        ; implicit-def: $vgpr3
.LBB23_64:
	s_or_saveexec_b64 s[0:1], s[0:1]
	v_mov_b32_e32 v4, v1
	s_xor_b64 exec, exec, s[0:1]
; %bb.65:
	v_cmp_lt_f32_e32 vcc, v3, v1
	v_cndmask_b32_e32 v4, v1, v3, vcc
	v_cmp_lt_f32_e32 vcc, v1, v3
	v_cndmask_b32_e32 v1, v1, v3, vcc
	v_mov_b32_e32 v7, 1
; %bb.66:
	s_or_b64 exec, exec, s[0:1]
	v_mov_b32_e32 v2, v1
	v_mov_b32_e32 v1, v4
.LBB23_67:
	s_or_b64 exec, exec, s[4:5]
	v_mbcnt_lo_u32_b32 v3, -1, 0
	v_mbcnt_hi_u32_b32 v3, -1, v3
	v_and_b32_e32 v4, 63, v3
	v_cmp_ne_u32_e32 vcc, 63, v4
	v_addc_co_u32_e32 v5, vcc, 0, v3, vcc
	v_and_b32_e32 v6, 0xff, v7
	v_lshlrev_b32_e32 v5, 2, v5
	ds_bpermute_b32 v10, v5, v6
	ds_bpermute_b32 v8, v5, v1
	;; [unrolled: 1-line block ×3, first 2 shown]
	s_min_u32 s16, s16, 0x80
	v_and_b32_e32 v5, 64, v0
	v_sub_u32_e64 v5, s16, v5 clamp
	v_add_u32_e32 v11, 1, v4
	v_cmp_lt_u32_e32 vcc, v11, v5
	s_and_saveexec_b64 s[0:1], vcc
	s_xor_b64 s[0:1], exec, s[0:1]
	s_cbranch_execz .LBB23_75
; %bb.68:
	s_waitcnt lgkmcnt(2)
	v_and_b32_e32 v6, v10, v6
	v_cmp_ne_u32_e32 vcc, 0, v6
	s_and_saveexec_b64 s[4:5], vcc
	s_xor_b64 s[4:5], exec, s[4:5]
	s_cbranch_execz .LBB23_70
; %bb.69:
	s_waitcnt lgkmcnt(1)
	v_cmp_gt_f32_e32 vcc, v1, v8
	v_cndmask_b32_e32 v8, v1, v8, vcc
	s_waitcnt lgkmcnt(0)
	v_cmp_lt_f32_e32 vcc, v2, v9
	v_cndmask_b32_e32 v9, v2, v9, vcc
                                        ; implicit-def: $vgpr2
                                        ; implicit-def: $vgpr10
                                        ; implicit-def: $vgpr7
.LBB23_70:
	s_or_saveexec_b64 s[4:5], s[4:5]
	v_mov_b32_e32 v6, 1
	s_xor_b64 exec, exec, s[4:5]
	s_cbranch_execz .LBB23_74
; %bb.71:
	v_and_b32_e32 v6, 1, v7
	v_cmp_eq_u32_e32 vcc, 1, v6
	s_and_saveexec_b64 s[8:9], vcc
	s_cbranch_execz .LBB23_73
; %bb.72:
	v_mov_b32_e32 v10, 1
	s_waitcnt lgkmcnt(0)
	v_mov_b32_e32 v9, v2
	v_mov_b32_e32 v8, v1
.LBB23_73:
	s_or_b64 exec, exec, s[8:9]
	v_mov_b32_e32 v6, v10
.LBB23_74:
	s_or_b64 exec, exec, s[4:5]
	v_and_b32_e32 v6, 0xff, v6
	s_waitcnt lgkmcnt(1)
	v_mov_b32_e32 v1, v8
	s_waitcnt lgkmcnt(0)
	v_mov_b32_e32 v2, v9
.LBB23_75:
	s_or_b64 exec, exec, s[0:1]
	v_cmp_gt_u32_e32 vcc, 62, v4
	v_cndmask_b32_e64 v7, 0, 2, vcc
	v_add_lshl_u32 v7, v7, v3, 2
	s_waitcnt lgkmcnt(0)
	ds_bpermute_b32 v9, v7, v6
	ds_bpermute_b32 v8, v7, v1
	ds_bpermute_b32 v7, v7, v2
	v_add_u32_e32 v10, 2, v4
	v_cmp_lt_u32_e32 vcc, v10, v5
	s_and_saveexec_b64 s[0:1], vcc
	s_cbranch_execz .LBB23_83
; %bb.76:
	s_waitcnt lgkmcnt(2)
	v_and_b32_e32 v10, v6, v9
	v_and_b32_e32 v10, 1, v10
	v_cmp_eq_u32_e32 vcc, 1, v10
	s_and_saveexec_b64 s[4:5], vcc
	s_xor_b64 s[4:5], exec, s[4:5]
	s_cbranch_execz .LBB23_78
; %bb.77:
	s_waitcnt lgkmcnt(1)
	v_cmp_gt_f32_e32 vcc, v1, v8
	v_cndmask_b32_e32 v8, v1, v8, vcc
	s_waitcnt lgkmcnt(0)
	v_cmp_lt_f32_e32 vcc, v2, v7
	v_cndmask_b32_e32 v7, v2, v7, vcc
                                        ; implicit-def: $vgpr2
                                        ; implicit-def: $vgpr9
                                        ; implicit-def: $vgpr6
.LBB23_78:
	s_or_saveexec_b64 s[4:5], s[4:5]
	v_mov_b32_e32 v10, 1
	s_xor_b64 exec, exec, s[4:5]
	s_cbranch_execz .LBB23_82
; %bb.79:
	v_and_b32_e32 v6, 1, v6
	v_cmp_eq_u32_e32 vcc, 1, v6
	s_and_saveexec_b64 s[8:9], vcc
	s_cbranch_execz .LBB23_81
; %bb.80:
	v_mov_b32_e32 v9, 1
	s_waitcnt lgkmcnt(0)
	v_mov_b32_e32 v7, v2
	v_mov_b32_e32 v8, v1
.LBB23_81:
	s_or_b64 exec, exec, s[8:9]
	v_mov_b32_e32 v10, v9
.LBB23_82:
	s_or_b64 exec, exec, s[4:5]
	v_and_b32_e32 v6, 0xff, v10
	s_waitcnt lgkmcnt(1)
	v_mov_b32_e32 v1, v8
	s_waitcnt lgkmcnt(0)
	v_mov_b32_e32 v2, v7
.LBB23_83:
	s_or_b64 exec, exec, s[0:1]
	v_cmp_gt_u32_e32 vcc, 60, v4
	s_waitcnt lgkmcnt(0)
	v_cndmask_b32_e64 v7, 0, 4, vcc
	v_add_lshl_u32 v7, v7, v3, 2
	ds_bpermute_b32 v9, v7, v6
	ds_bpermute_b32 v8, v7, v1
	ds_bpermute_b32 v7, v7, v2
	v_add_u32_e32 v10, 4, v4
	v_cmp_lt_u32_e32 vcc, v10, v5
	s_and_saveexec_b64 s[0:1], vcc
	s_cbranch_execz .LBB23_91
; %bb.84:
	s_waitcnt lgkmcnt(2)
	v_and_b32_e32 v10, v6, v9
	v_and_b32_e32 v10, 1, v10
	v_cmp_eq_u32_e32 vcc, 1, v10
	s_and_saveexec_b64 s[4:5], vcc
	s_xor_b64 s[4:5], exec, s[4:5]
	s_cbranch_execz .LBB23_86
; %bb.85:
	s_waitcnt lgkmcnt(1)
	v_cmp_gt_f32_e32 vcc, v1, v8
	v_cndmask_b32_e32 v8, v1, v8, vcc
	s_waitcnt lgkmcnt(0)
	v_cmp_lt_f32_e32 vcc, v2, v7
	v_cndmask_b32_e32 v7, v2, v7, vcc
                                        ; implicit-def: $vgpr2
                                        ; implicit-def: $vgpr9
                                        ; implicit-def: $vgpr6
.LBB23_86:
	s_or_saveexec_b64 s[4:5], s[4:5]
	v_mov_b32_e32 v10, 1
	s_xor_b64 exec, exec, s[4:5]
	s_cbranch_execz .LBB23_90
; %bb.87:
	v_and_b32_e32 v6, 1, v6
	v_cmp_eq_u32_e32 vcc, 1, v6
	s_and_saveexec_b64 s[8:9], vcc
	s_cbranch_execz .LBB23_89
; %bb.88:
	v_mov_b32_e32 v9, 1
	s_waitcnt lgkmcnt(0)
	v_mov_b32_e32 v7, v2
	v_mov_b32_e32 v8, v1
.LBB23_89:
	s_or_b64 exec, exec, s[8:9]
	v_mov_b32_e32 v10, v9
.LBB23_90:
	s_or_b64 exec, exec, s[4:5]
	v_and_b32_e32 v6, 0xff, v10
	s_waitcnt lgkmcnt(1)
	v_mov_b32_e32 v1, v8
	s_waitcnt lgkmcnt(0)
	v_mov_b32_e32 v2, v7
.LBB23_91:
	s_or_b64 exec, exec, s[0:1]
	v_cmp_gt_u32_e32 vcc, 56, v4
	s_waitcnt lgkmcnt(0)
	v_cndmask_b32_e64 v7, 0, 8, vcc
	v_add_lshl_u32 v7, v7, v3, 2
	;; [unrolled: 56-line block ×3, first 2 shown]
	ds_bpermute_b32 v9, v7, v6
	ds_bpermute_b32 v8, v7, v1
	;; [unrolled: 1-line block ×3, first 2 shown]
	v_add_u32_e32 v10, 16, v4
	v_cmp_lt_u32_e32 vcc, v10, v5
	s_and_saveexec_b64 s[0:1], vcc
	s_cbranch_execz .LBB23_107
; %bb.100:
	s_waitcnt lgkmcnt(2)
	v_and_b32_e32 v10, v6, v9
	v_and_b32_e32 v10, 1, v10
	v_cmp_eq_u32_e32 vcc, 1, v10
	s_and_saveexec_b64 s[4:5], vcc
	s_xor_b64 s[4:5], exec, s[4:5]
	s_cbranch_execz .LBB23_102
; %bb.101:
	s_waitcnt lgkmcnt(1)
	v_cmp_gt_f32_e32 vcc, v1, v8
	v_cndmask_b32_e32 v8, v1, v8, vcc
	s_waitcnt lgkmcnt(0)
	v_cmp_lt_f32_e32 vcc, v2, v7
	v_cndmask_b32_e32 v7, v2, v7, vcc
                                        ; implicit-def: $vgpr2
                                        ; implicit-def: $vgpr9
                                        ; implicit-def: $vgpr6
.LBB23_102:
	s_or_saveexec_b64 s[4:5], s[4:5]
	v_mov_b32_e32 v10, 1
	s_xor_b64 exec, exec, s[4:5]
	s_cbranch_execz .LBB23_106
; %bb.103:
	v_and_b32_e32 v6, 1, v6
	v_cmp_eq_u32_e32 vcc, 1, v6
	s_and_saveexec_b64 s[8:9], vcc
	s_cbranch_execz .LBB23_105
; %bb.104:
	v_mov_b32_e32 v9, 1
	s_waitcnt lgkmcnt(0)
	v_mov_b32_e32 v7, v2
	v_mov_b32_e32 v8, v1
.LBB23_105:
	s_or_b64 exec, exec, s[8:9]
	v_mov_b32_e32 v10, v9
.LBB23_106:
	s_or_b64 exec, exec, s[4:5]
	v_and_b32_e32 v6, 0xff, v10
	s_waitcnt lgkmcnt(1)
	v_mov_b32_e32 v1, v8
	s_waitcnt lgkmcnt(0)
	v_mov_b32_e32 v2, v7
.LBB23_107:
	s_or_b64 exec, exec, s[0:1]
	s_waitcnt lgkmcnt(0)
	v_lshlrev_b32_e32 v7, 2, v3
	v_or_b32_e32 v9, 0x80, v7
	ds_bpermute_b32 v10, v9, v6
	ds_bpermute_b32 v8, v9, v1
	;; [unrolled: 1-line block ×3, first 2 shown]
	v_add_u32_e32 v4, 32, v4
	v_cmp_lt_u32_e32 vcc, v4, v5
	v_mov_b32_e32 v4, v6
	s_and_saveexec_b64 s[0:1], vcc
	s_cbranch_execz .LBB23_115
; %bb.108:
	s_waitcnt lgkmcnt(2)
	v_and_b32_e32 v4, v6, v10
	v_and_b32_e32 v4, 1, v4
	v_cmp_eq_u32_e32 vcc, 1, v4
	s_and_saveexec_b64 s[4:5], vcc
	s_xor_b64 s[4:5], exec, s[4:5]
	s_cbranch_execz .LBB23_110
; %bb.109:
	s_waitcnt lgkmcnt(1)
	v_cmp_gt_f32_e32 vcc, v1, v8
	v_cndmask_b32_e32 v8, v1, v8, vcc
	s_waitcnt lgkmcnt(0)
	v_cmp_lt_f32_e32 vcc, v2, v9
	v_cndmask_b32_e32 v9, v2, v9, vcc
                                        ; implicit-def: $vgpr2
                                        ; implicit-def: $vgpr10
                                        ; implicit-def: $vgpr6
.LBB23_110:
	s_or_saveexec_b64 s[4:5], s[4:5]
	v_mov_b32_e32 v4, 1
	s_xor_b64 exec, exec, s[4:5]
	s_cbranch_execz .LBB23_114
; %bb.111:
	v_and_b32_e32 v4, 1, v6
	v_cmp_eq_u32_e32 vcc, 1, v4
	s_and_saveexec_b64 s[8:9], vcc
	s_cbranch_execz .LBB23_113
; %bb.112:
	v_mov_b32_e32 v10, 1
	s_waitcnt lgkmcnt(0)
	v_mov_b32_e32 v9, v2
	v_mov_b32_e32 v8, v1
.LBB23_113:
	s_or_b64 exec, exec, s[8:9]
	v_mov_b32_e32 v4, v10
.LBB23_114:
	s_or_b64 exec, exec, s[4:5]
	v_and_b32_e32 v6, 0xff, v4
	s_waitcnt lgkmcnt(0)
	v_mov_b32_e32 v2, v9
	v_mov_b32_e32 v1, v8
.LBB23_115:
	s_or_b64 exec, exec, s[0:1]
	v_cmp_eq_u32_e32 vcc, 0, v3
	s_and_saveexec_b64 s[0:1], vcc
	s_cbranch_execz .LBB23_117
; %bb.116:
	v_lshrrev_b32_e32 v5, 6, v0
	v_mul_u32_u24_e32 v5, 12, v5
	ds_write_b8 v5, v4
	ds_write2_b32 v5, v1, v2 offset0:1 offset1:2
.LBB23_117:
	s_or_b64 exec, exec, s[0:1]
	v_cmp_gt_u32_e32 vcc, 2, v0
	s_waitcnt lgkmcnt(0)
	s_barrier
	s_and_saveexec_b64 s[0:1], vcc
	s_cbranch_execz .LBB23_127
; %bb.118:
	v_mul_u32_u24_e32 v1, 12, v3
	ds_read_u8 v8, v1
	ds_read2_b32 v[1:2], v1 offset0:1 offset1:2
	v_or_b32_e32 v5, 4, v7
	s_add_i32 s16, s16, 63
	v_and_b32_e32 v3, 1, v3
	s_waitcnt lgkmcnt(1)
	v_and_b32_e32 v6, 0xff, v8
	s_waitcnt lgkmcnt(0)
	ds_bpermute_b32 v4, v5, v1
	ds_bpermute_b32 v7, v5, v6
	;; [unrolled: 1-line block ×3, first 2 shown]
	s_lshr_b32 s4, s16, 6
	v_add_u32_e32 v3, 1, v3
	v_cmp_gt_u32_e32 vcc, s4, v3
	s_and_saveexec_b64 s[4:5], vcc
	s_cbranch_execz .LBB23_126
; %bb.119:
	s_waitcnt lgkmcnt(1)
	v_and_b32_e32 v3, v6, v7
	v_and_b32_e32 v3, 1, v3
	v_cmp_eq_u32_e32 vcc, 1, v3
	s_and_saveexec_b64 s[8:9], vcc
	s_xor_b64 s[8:9], exec, s[8:9]
	s_cbranch_execz .LBB23_121
; %bb.120:
	v_cmp_gt_f32_e32 vcc, v1, v4
	v_cndmask_b32_e32 v4, v1, v4, vcc
	s_waitcnt lgkmcnt(0)
	v_cmp_lt_f32_e32 vcc, v2, v5
	v_cndmask_b32_e32 v5, v2, v5, vcc
                                        ; implicit-def: $vgpr2
                                        ; implicit-def: $vgpr7
                                        ; implicit-def: $vgpr8
.LBB23_121:
	s_or_saveexec_b64 s[8:9], s[8:9]
	v_mov_b32_e32 v6, 1
	s_xor_b64 exec, exec, s[8:9]
	s_cbranch_execz .LBB23_125
; %bb.122:
	v_and_b32_e32 v3, 1, v8
	v_cmp_eq_u32_e32 vcc, 1, v3
	s_and_saveexec_b64 s[16:17], vcc
	s_cbranch_execz .LBB23_124
; %bb.123:
	v_mov_b32_e32 v7, 1
	s_waitcnt lgkmcnt(0)
	v_mov_b32_e32 v5, v2
	v_mov_b32_e32 v4, v1
.LBB23_124:
	s_or_b64 exec, exec, s[16:17]
	v_mov_b32_e32 v6, v7
.LBB23_125:
	s_or_b64 exec, exec, s[8:9]
	s_waitcnt lgkmcnt(0)
	v_mov_b32_e32 v2, v5
	v_mov_b32_e32 v1, v4
.LBB23_126:
	s_or_b64 exec, exec, s[4:5]
.LBB23_127:
	s_or_b64 exec, exec, s[0:1]
.LBB23_128:
	v_cmp_eq_u32_e32 vcc, 0, v0
	s_and_saveexec_b64 s[0:1], vcc
	s_cbranch_execnz .LBB23_130
; %bb.129:
	s_endpgm
.LBB23_130:
	s_mul_i32 s0, s20, s15
	s_mul_hi_u32 s1, s20, s14
	s_add_i32 s0, s1, s0
	s_mul_i32 s1, s21, s14
	s_add_i32 s0, s0, s1
	s_mul_i32 s1, s20, s14
	s_mul_i32 s0, s0, 12
	s_mul_hi_u32 s4, s1, 12
	s_add_i32 s4, s4, s0
	s_mul_i32 s1, s1, 12
	s_add_u32 s0, s12, s1
	s_addc_u32 s1, s13, s4
	s_cmp_eq_u64 s[10:11], 0
	s_waitcnt lgkmcnt(0)
	v_mov_b32_e32 v0, s3
	s_cselect_b64 vcc, -1, 0
	v_cndmask_b32_e32 v2, v2, v0, vcc
	v_mov_b32_e32 v0, s2
	s_mul_i32 s3, s6, 12
	v_cndmask_b32_e32 v1, v1, v0, vcc
	v_mov_b32_e32 v0, s7
	s_mul_hi_u32 s2, s6, 12
	s_add_u32 s0, s0, s3
	v_cndmask_b32_e32 v0, v6, v0, vcc
	s_addc_u32 s1, s1, s2
	v_mov_b32_e32 v3, 0
	global_store_byte v3, v0, s[0:1]
	global_store_dwordx2 v3, v[1:2], s[0:1] offset:4
	s_endpgm
	.section	.rodata,"a",@progbits
	.p2align	6, 0x0
	.amdhsa_kernel _ZN7rocprim17ROCPRIM_400000_NS6detail17trampoline_kernelINS0_14default_configENS1_22reduce_config_selectorIN6thrust23THRUST_200600_302600_NS5tupleIbffNS6_9null_typeES8_S8_S8_S8_S8_S8_EEEEZNS1_11reduce_implILb1ES3_NS6_11hip_rocprim26transform_input_iterator_tIS9_NS6_12zip_iteratorINS7_INS6_17counting_iteratorIiNS6_11use_defaultESG_SG_EENS6_6detail15normal_iteratorINS6_10device_ptrIfEEEES8_S8_S8_S8_S8_S8_S8_S8_EEEE15transform_tupleIifEEEPS9_S9_12reduce_tupleIifEEE10hipError_tPvRmT1_T2_T3_mT4_P12ihipStream_tbEUlT_E0_NS1_11comp_targetILNS1_3genE2ELNS1_11target_archE906ELNS1_3gpuE6ELNS1_3repE0EEENS1_30default_config_static_selectorELNS0_4arch9wavefront6targetE1EEEvSY_
		.amdhsa_group_segment_fixed_size 56
		.amdhsa_private_segment_fixed_size 0
		.amdhsa_kernarg_size 80
		.amdhsa_user_sgpr_count 6
		.amdhsa_user_sgpr_private_segment_buffer 1
		.amdhsa_user_sgpr_dispatch_ptr 0
		.amdhsa_user_sgpr_queue_ptr 0
		.amdhsa_user_sgpr_kernarg_segment_ptr 1
		.amdhsa_user_sgpr_dispatch_id 0
		.amdhsa_user_sgpr_flat_scratch_init 0
		.amdhsa_user_sgpr_private_segment_size 0
		.amdhsa_uses_dynamic_stack 0
		.amdhsa_system_sgpr_private_segment_wavefront_offset 0
		.amdhsa_system_sgpr_workgroup_id_x 1
		.amdhsa_system_sgpr_workgroup_id_y 0
		.amdhsa_system_sgpr_workgroup_id_z 0
		.amdhsa_system_sgpr_workgroup_info 0
		.amdhsa_system_vgpr_workitem_id 0
		.amdhsa_next_free_vgpr 12
		.amdhsa_next_free_sgpr 25
		.amdhsa_reserve_vcc 1
		.amdhsa_reserve_flat_scratch 0
		.amdhsa_float_round_mode_32 0
		.amdhsa_float_round_mode_16_64 0
		.amdhsa_float_denorm_mode_32 3
		.amdhsa_float_denorm_mode_16_64 3
		.amdhsa_dx10_clamp 1
		.amdhsa_ieee_mode 1
		.amdhsa_fp16_overflow 0
		.amdhsa_exception_fp_ieee_invalid_op 0
		.amdhsa_exception_fp_denorm_src 0
		.amdhsa_exception_fp_ieee_div_zero 0
		.amdhsa_exception_fp_ieee_overflow 0
		.amdhsa_exception_fp_ieee_underflow 0
		.amdhsa_exception_fp_ieee_inexact 0
		.amdhsa_exception_int_div_zero 0
	.end_amdhsa_kernel
	.section	.text._ZN7rocprim17ROCPRIM_400000_NS6detail17trampoline_kernelINS0_14default_configENS1_22reduce_config_selectorIN6thrust23THRUST_200600_302600_NS5tupleIbffNS6_9null_typeES8_S8_S8_S8_S8_S8_EEEEZNS1_11reduce_implILb1ES3_NS6_11hip_rocprim26transform_input_iterator_tIS9_NS6_12zip_iteratorINS7_INS6_17counting_iteratorIiNS6_11use_defaultESG_SG_EENS6_6detail15normal_iteratorINS6_10device_ptrIfEEEES8_S8_S8_S8_S8_S8_S8_S8_EEEE15transform_tupleIifEEEPS9_S9_12reduce_tupleIifEEE10hipError_tPvRmT1_T2_T3_mT4_P12ihipStream_tbEUlT_E0_NS1_11comp_targetILNS1_3genE2ELNS1_11target_archE906ELNS1_3gpuE6ELNS1_3repE0EEENS1_30default_config_static_selectorELNS0_4arch9wavefront6targetE1EEEvSY_,"axG",@progbits,_ZN7rocprim17ROCPRIM_400000_NS6detail17trampoline_kernelINS0_14default_configENS1_22reduce_config_selectorIN6thrust23THRUST_200600_302600_NS5tupleIbffNS6_9null_typeES8_S8_S8_S8_S8_S8_EEEEZNS1_11reduce_implILb1ES3_NS6_11hip_rocprim26transform_input_iterator_tIS9_NS6_12zip_iteratorINS7_INS6_17counting_iteratorIiNS6_11use_defaultESG_SG_EENS6_6detail15normal_iteratorINS6_10device_ptrIfEEEES8_S8_S8_S8_S8_S8_S8_S8_EEEE15transform_tupleIifEEEPS9_S9_12reduce_tupleIifEEE10hipError_tPvRmT1_T2_T3_mT4_P12ihipStream_tbEUlT_E0_NS1_11comp_targetILNS1_3genE2ELNS1_11target_archE906ELNS1_3gpuE6ELNS1_3repE0EEENS1_30default_config_static_selectorELNS0_4arch9wavefront6targetE1EEEvSY_,comdat
.Lfunc_end23:
	.size	_ZN7rocprim17ROCPRIM_400000_NS6detail17trampoline_kernelINS0_14default_configENS1_22reduce_config_selectorIN6thrust23THRUST_200600_302600_NS5tupleIbffNS6_9null_typeES8_S8_S8_S8_S8_S8_EEEEZNS1_11reduce_implILb1ES3_NS6_11hip_rocprim26transform_input_iterator_tIS9_NS6_12zip_iteratorINS7_INS6_17counting_iteratorIiNS6_11use_defaultESG_SG_EENS6_6detail15normal_iteratorINS6_10device_ptrIfEEEES8_S8_S8_S8_S8_S8_S8_S8_EEEE15transform_tupleIifEEEPS9_S9_12reduce_tupleIifEEE10hipError_tPvRmT1_T2_T3_mT4_P12ihipStream_tbEUlT_E0_NS1_11comp_targetILNS1_3genE2ELNS1_11target_archE906ELNS1_3gpuE6ELNS1_3repE0EEENS1_30default_config_static_selectorELNS0_4arch9wavefront6targetE1EEEvSY_, .Lfunc_end23-_ZN7rocprim17ROCPRIM_400000_NS6detail17trampoline_kernelINS0_14default_configENS1_22reduce_config_selectorIN6thrust23THRUST_200600_302600_NS5tupleIbffNS6_9null_typeES8_S8_S8_S8_S8_S8_EEEEZNS1_11reduce_implILb1ES3_NS6_11hip_rocprim26transform_input_iterator_tIS9_NS6_12zip_iteratorINS7_INS6_17counting_iteratorIiNS6_11use_defaultESG_SG_EENS6_6detail15normal_iteratorINS6_10device_ptrIfEEEES8_S8_S8_S8_S8_S8_S8_S8_EEEE15transform_tupleIifEEEPS9_S9_12reduce_tupleIifEEE10hipError_tPvRmT1_T2_T3_mT4_P12ihipStream_tbEUlT_E0_NS1_11comp_targetILNS1_3genE2ELNS1_11target_archE906ELNS1_3gpuE6ELNS1_3repE0EEENS1_30default_config_static_selectorELNS0_4arch9wavefront6targetE1EEEvSY_
                                        ; -- End function
	.set _ZN7rocprim17ROCPRIM_400000_NS6detail17trampoline_kernelINS0_14default_configENS1_22reduce_config_selectorIN6thrust23THRUST_200600_302600_NS5tupleIbffNS6_9null_typeES8_S8_S8_S8_S8_S8_EEEEZNS1_11reduce_implILb1ES3_NS6_11hip_rocprim26transform_input_iterator_tIS9_NS6_12zip_iteratorINS7_INS6_17counting_iteratorIiNS6_11use_defaultESG_SG_EENS6_6detail15normal_iteratorINS6_10device_ptrIfEEEES8_S8_S8_S8_S8_S8_S8_S8_EEEE15transform_tupleIifEEEPS9_S9_12reduce_tupleIifEEE10hipError_tPvRmT1_T2_T3_mT4_P12ihipStream_tbEUlT_E0_NS1_11comp_targetILNS1_3genE2ELNS1_11target_archE906ELNS1_3gpuE6ELNS1_3repE0EEENS1_30default_config_static_selectorELNS0_4arch9wavefront6targetE1EEEvSY_.num_vgpr, 12
	.set _ZN7rocprim17ROCPRIM_400000_NS6detail17trampoline_kernelINS0_14default_configENS1_22reduce_config_selectorIN6thrust23THRUST_200600_302600_NS5tupleIbffNS6_9null_typeES8_S8_S8_S8_S8_S8_EEEEZNS1_11reduce_implILb1ES3_NS6_11hip_rocprim26transform_input_iterator_tIS9_NS6_12zip_iteratorINS7_INS6_17counting_iteratorIiNS6_11use_defaultESG_SG_EENS6_6detail15normal_iteratorINS6_10device_ptrIfEEEES8_S8_S8_S8_S8_S8_S8_S8_EEEE15transform_tupleIifEEEPS9_S9_12reduce_tupleIifEEE10hipError_tPvRmT1_T2_T3_mT4_P12ihipStream_tbEUlT_E0_NS1_11comp_targetILNS1_3genE2ELNS1_11target_archE906ELNS1_3gpuE6ELNS1_3repE0EEENS1_30default_config_static_selectorELNS0_4arch9wavefront6targetE1EEEvSY_.num_agpr, 0
	.set _ZN7rocprim17ROCPRIM_400000_NS6detail17trampoline_kernelINS0_14default_configENS1_22reduce_config_selectorIN6thrust23THRUST_200600_302600_NS5tupleIbffNS6_9null_typeES8_S8_S8_S8_S8_S8_EEEEZNS1_11reduce_implILb1ES3_NS6_11hip_rocprim26transform_input_iterator_tIS9_NS6_12zip_iteratorINS7_INS6_17counting_iteratorIiNS6_11use_defaultESG_SG_EENS6_6detail15normal_iteratorINS6_10device_ptrIfEEEES8_S8_S8_S8_S8_S8_S8_S8_EEEE15transform_tupleIifEEEPS9_S9_12reduce_tupleIifEEE10hipError_tPvRmT1_T2_T3_mT4_P12ihipStream_tbEUlT_E0_NS1_11comp_targetILNS1_3genE2ELNS1_11target_archE906ELNS1_3gpuE6ELNS1_3repE0EEENS1_30default_config_static_selectorELNS0_4arch9wavefront6targetE1EEEvSY_.numbered_sgpr, 25
	.set _ZN7rocprim17ROCPRIM_400000_NS6detail17trampoline_kernelINS0_14default_configENS1_22reduce_config_selectorIN6thrust23THRUST_200600_302600_NS5tupleIbffNS6_9null_typeES8_S8_S8_S8_S8_S8_EEEEZNS1_11reduce_implILb1ES3_NS6_11hip_rocprim26transform_input_iterator_tIS9_NS6_12zip_iteratorINS7_INS6_17counting_iteratorIiNS6_11use_defaultESG_SG_EENS6_6detail15normal_iteratorINS6_10device_ptrIfEEEES8_S8_S8_S8_S8_S8_S8_S8_EEEE15transform_tupleIifEEEPS9_S9_12reduce_tupleIifEEE10hipError_tPvRmT1_T2_T3_mT4_P12ihipStream_tbEUlT_E0_NS1_11comp_targetILNS1_3genE2ELNS1_11target_archE906ELNS1_3gpuE6ELNS1_3repE0EEENS1_30default_config_static_selectorELNS0_4arch9wavefront6targetE1EEEvSY_.num_named_barrier, 0
	.set _ZN7rocprim17ROCPRIM_400000_NS6detail17trampoline_kernelINS0_14default_configENS1_22reduce_config_selectorIN6thrust23THRUST_200600_302600_NS5tupleIbffNS6_9null_typeES8_S8_S8_S8_S8_S8_EEEEZNS1_11reduce_implILb1ES3_NS6_11hip_rocprim26transform_input_iterator_tIS9_NS6_12zip_iteratorINS7_INS6_17counting_iteratorIiNS6_11use_defaultESG_SG_EENS6_6detail15normal_iteratorINS6_10device_ptrIfEEEES8_S8_S8_S8_S8_S8_S8_S8_EEEE15transform_tupleIifEEEPS9_S9_12reduce_tupleIifEEE10hipError_tPvRmT1_T2_T3_mT4_P12ihipStream_tbEUlT_E0_NS1_11comp_targetILNS1_3genE2ELNS1_11target_archE906ELNS1_3gpuE6ELNS1_3repE0EEENS1_30default_config_static_selectorELNS0_4arch9wavefront6targetE1EEEvSY_.private_seg_size, 0
	.set _ZN7rocprim17ROCPRIM_400000_NS6detail17trampoline_kernelINS0_14default_configENS1_22reduce_config_selectorIN6thrust23THRUST_200600_302600_NS5tupleIbffNS6_9null_typeES8_S8_S8_S8_S8_S8_EEEEZNS1_11reduce_implILb1ES3_NS6_11hip_rocprim26transform_input_iterator_tIS9_NS6_12zip_iteratorINS7_INS6_17counting_iteratorIiNS6_11use_defaultESG_SG_EENS6_6detail15normal_iteratorINS6_10device_ptrIfEEEES8_S8_S8_S8_S8_S8_S8_S8_EEEE15transform_tupleIifEEEPS9_S9_12reduce_tupleIifEEE10hipError_tPvRmT1_T2_T3_mT4_P12ihipStream_tbEUlT_E0_NS1_11comp_targetILNS1_3genE2ELNS1_11target_archE906ELNS1_3gpuE6ELNS1_3repE0EEENS1_30default_config_static_selectorELNS0_4arch9wavefront6targetE1EEEvSY_.uses_vcc, 1
	.set _ZN7rocprim17ROCPRIM_400000_NS6detail17trampoline_kernelINS0_14default_configENS1_22reduce_config_selectorIN6thrust23THRUST_200600_302600_NS5tupleIbffNS6_9null_typeES8_S8_S8_S8_S8_S8_EEEEZNS1_11reduce_implILb1ES3_NS6_11hip_rocprim26transform_input_iterator_tIS9_NS6_12zip_iteratorINS7_INS6_17counting_iteratorIiNS6_11use_defaultESG_SG_EENS6_6detail15normal_iteratorINS6_10device_ptrIfEEEES8_S8_S8_S8_S8_S8_S8_S8_EEEE15transform_tupleIifEEEPS9_S9_12reduce_tupleIifEEE10hipError_tPvRmT1_T2_T3_mT4_P12ihipStream_tbEUlT_E0_NS1_11comp_targetILNS1_3genE2ELNS1_11target_archE906ELNS1_3gpuE6ELNS1_3repE0EEENS1_30default_config_static_selectorELNS0_4arch9wavefront6targetE1EEEvSY_.uses_flat_scratch, 0
	.set _ZN7rocprim17ROCPRIM_400000_NS6detail17trampoline_kernelINS0_14default_configENS1_22reduce_config_selectorIN6thrust23THRUST_200600_302600_NS5tupleIbffNS6_9null_typeES8_S8_S8_S8_S8_S8_EEEEZNS1_11reduce_implILb1ES3_NS6_11hip_rocprim26transform_input_iterator_tIS9_NS6_12zip_iteratorINS7_INS6_17counting_iteratorIiNS6_11use_defaultESG_SG_EENS6_6detail15normal_iteratorINS6_10device_ptrIfEEEES8_S8_S8_S8_S8_S8_S8_S8_EEEE15transform_tupleIifEEEPS9_S9_12reduce_tupleIifEEE10hipError_tPvRmT1_T2_T3_mT4_P12ihipStream_tbEUlT_E0_NS1_11comp_targetILNS1_3genE2ELNS1_11target_archE906ELNS1_3gpuE6ELNS1_3repE0EEENS1_30default_config_static_selectorELNS0_4arch9wavefront6targetE1EEEvSY_.has_dyn_sized_stack, 0
	.set _ZN7rocprim17ROCPRIM_400000_NS6detail17trampoline_kernelINS0_14default_configENS1_22reduce_config_selectorIN6thrust23THRUST_200600_302600_NS5tupleIbffNS6_9null_typeES8_S8_S8_S8_S8_S8_EEEEZNS1_11reduce_implILb1ES3_NS6_11hip_rocprim26transform_input_iterator_tIS9_NS6_12zip_iteratorINS7_INS6_17counting_iteratorIiNS6_11use_defaultESG_SG_EENS6_6detail15normal_iteratorINS6_10device_ptrIfEEEES8_S8_S8_S8_S8_S8_S8_S8_EEEE15transform_tupleIifEEEPS9_S9_12reduce_tupleIifEEE10hipError_tPvRmT1_T2_T3_mT4_P12ihipStream_tbEUlT_E0_NS1_11comp_targetILNS1_3genE2ELNS1_11target_archE906ELNS1_3gpuE6ELNS1_3repE0EEENS1_30default_config_static_selectorELNS0_4arch9wavefront6targetE1EEEvSY_.has_recursion, 0
	.set _ZN7rocprim17ROCPRIM_400000_NS6detail17trampoline_kernelINS0_14default_configENS1_22reduce_config_selectorIN6thrust23THRUST_200600_302600_NS5tupleIbffNS6_9null_typeES8_S8_S8_S8_S8_S8_EEEEZNS1_11reduce_implILb1ES3_NS6_11hip_rocprim26transform_input_iterator_tIS9_NS6_12zip_iteratorINS7_INS6_17counting_iteratorIiNS6_11use_defaultESG_SG_EENS6_6detail15normal_iteratorINS6_10device_ptrIfEEEES8_S8_S8_S8_S8_S8_S8_S8_EEEE15transform_tupleIifEEEPS9_S9_12reduce_tupleIifEEE10hipError_tPvRmT1_T2_T3_mT4_P12ihipStream_tbEUlT_E0_NS1_11comp_targetILNS1_3genE2ELNS1_11target_archE906ELNS1_3gpuE6ELNS1_3repE0EEENS1_30default_config_static_selectorELNS0_4arch9wavefront6targetE1EEEvSY_.has_indirect_call, 0
	.section	.AMDGPU.csdata,"",@progbits
; Kernel info:
; codeLenInByte = 3652
; TotalNumSgprs: 29
; NumVgprs: 12
; ScratchSize: 0
; MemoryBound: 0
; FloatMode: 240
; IeeeMode: 1
; LDSByteSize: 56 bytes/workgroup (compile time only)
; SGPRBlocks: 3
; VGPRBlocks: 2
; NumSGPRsForWavesPerEU: 29
; NumVGPRsForWavesPerEU: 12
; Occupancy: 10
; WaveLimiterHint : 1
; COMPUTE_PGM_RSRC2:SCRATCH_EN: 0
; COMPUTE_PGM_RSRC2:USER_SGPR: 6
; COMPUTE_PGM_RSRC2:TRAP_HANDLER: 0
; COMPUTE_PGM_RSRC2:TGID_X_EN: 1
; COMPUTE_PGM_RSRC2:TGID_Y_EN: 0
; COMPUTE_PGM_RSRC2:TGID_Z_EN: 0
; COMPUTE_PGM_RSRC2:TIDIG_COMP_CNT: 0
	.section	.text._ZN7rocprim17ROCPRIM_400000_NS6detail17trampoline_kernelINS0_14default_configENS1_22reduce_config_selectorIN6thrust23THRUST_200600_302600_NS5tupleIbffNS6_9null_typeES8_S8_S8_S8_S8_S8_EEEEZNS1_11reduce_implILb1ES3_NS6_11hip_rocprim26transform_input_iterator_tIS9_NS6_12zip_iteratorINS7_INS6_17counting_iteratorIiNS6_11use_defaultESG_SG_EENS6_6detail15normal_iteratorINS6_10device_ptrIfEEEES8_S8_S8_S8_S8_S8_S8_S8_EEEE15transform_tupleIifEEEPS9_S9_12reduce_tupleIifEEE10hipError_tPvRmT1_T2_T3_mT4_P12ihipStream_tbEUlT_E0_NS1_11comp_targetILNS1_3genE10ELNS1_11target_archE1201ELNS1_3gpuE5ELNS1_3repE0EEENS1_30default_config_static_selectorELNS0_4arch9wavefront6targetE1EEEvSY_,"axG",@progbits,_ZN7rocprim17ROCPRIM_400000_NS6detail17trampoline_kernelINS0_14default_configENS1_22reduce_config_selectorIN6thrust23THRUST_200600_302600_NS5tupleIbffNS6_9null_typeES8_S8_S8_S8_S8_S8_EEEEZNS1_11reduce_implILb1ES3_NS6_11hip_rocprim26transform_input_iterator_tIS9_NS6_12zip_iteratorINS7_INS6_17counting_iteratorIiNS6_11use_defaultESG_SG_EENS6_6detail15normal_iteratorINS6_10device_ptrIfEEEES8_S8_S8_S8_S8_S8_S8_S8_EEEE15transform_tupleIifEEEPS9_S9_12reduce_tupleIifEEE10hipError_tPvRmT1_T2_T3_mT4_P12ihipStream_tbEUlT_E0_NS1_11comp_targetILNS1_3genE10ELNS1_11target_archE1201ELNS1_3gpuE5ELNS1_3repE0EEENS1_30default_config_static_selectorELNS0_4arch9wavefront6targetE1EEEvSY_,comdat
	.protected	_ZN7rocprim17ROCPRIM_400000_NS6detail17trampoline_kernelINS0_14default_configENS1_22reduce_config_selectorIN6thrust23THRUST_200600_302600_NS5tupleIbffNS6_9null_typeES8_S8_S8_S8_S8_S8_EEEEZNS1_11reduce_implILb1ES3_NS6_11hip_rocprim26transform_input_iterator_tIS9_NS6_12zip_iteratorINS7_INS6_17counting_iteratorIiNS6_11use_defaultESG_SG_EENS6_6detail15normal_iteratorINS6_10device_ptrIfEEEES8_S8_S8_S8_S8_S8_S8_S8_EEEE15transform_tupleIifEEEPS9_S9_12reduce_tupleIifEEE10hipError_tPvRmT1_T2_T3_mT4_P12ihipStream_tbEUlT_E0_NS1_11comp_targetILNS1_3genE10ELNS1_11target_archE1201ELNS1_3gpuE5ELNS1_3repE0EEENS1_30default_config_static_selectorELNS0_4arch9wavefront6targetE1EEEvSY_ ; -- Begin function _ZN7rocprim17ROCPRIM_400000_NS6detail17trampoline_kernelINS0_14default_configENS1_22reduce_config_selectorIN6thrust23THRUST_200600_302600_NS5tupleIbffNS6_9null_typeES8_S8_S8_S8_S8_S8_EEEEZNS1_11reduce_implILb1ES3_NS6_11hip_rocprim26transform_input_iterator_tIS9_NS6_12zip_iteratorINS7_INS6_17counting_iteratorIiNS6_11use_defaultESG_SG_EENS6_6detail15normal_iteratorINS6_10device_ptrIfEEEES8_S8_S8_S8_S8_S8_S8_S8_EEEE15transform_tupleIifEEEPS9_S9_12reduce_tupleIifEEE10hipError_tPvRmT1_T2_T3_mT4_P12ihipStream_tbEUlT_E0_NS1_11comp_targetILNS1_3genE10ELNS1_11target_archE1201ELNS1_3gpuE5ELNS1_3repE0EEENS1_30default_config_static_selectorELNS0_4arch9wavefront6targetE1EEEvSY_
	.globl	_ZN7rocprim17ROCPRIM_400000_NS6detail17trampoline_kernelINS0_14default_configENS1_22reduce_config_selectorIN6thrust23THRUST_200600_302600_NS5tupleIbffNS6_9null_typeES8_S8_S8_S8_S8_S8_EEEEZNS1_11reduce_implILb1ES3_NS6_11hip_rocprim26transform_input_iterator_tIS9_NS6_12zip_iteratorINS7_INS6_17counting_iteratorIiNS6_11use_defaultESG_SG_EENS6_6detail15normal_iteratorINS6_10device_ptrIfEEEES8_S8_S8_S8_S8_S8_S8_S8_EEEE15transform_tupleIifEEEPS9_S9_12reduce_tupleIifEEE10hipError_tPvRmT1_T2_T3_mT4_P12ihipStream_tbEUlT_E0_NS1_11comp_targetILNS1_3genE10ELNS1_11target_archE1201ELNS1_3gpuE5ELNS1_3repE0EEENS1_30default_config_static_selectorELNS0_4arch9wavefront6targetE1EEEvSY_
	.p2align	8
	.type	_ZN7rocprim17ROCPRIM_400000_NS6detail17trampoline_kernelINS0_14default_configENS1_22reduce_config_selectorIN6thrust23THRUST_200600_302600_NS5tupleIbffNS6_9null_typeES8_S8_S8_S8_S8_S8_EEEEZNS1_11reduce_implILb1ES3_NS6_11hip_rocprim26transform_input_iterator_tIS9_NS6_12zip_iteratorINS7_INS6_17counting_iteratorIiNS6_11use_defaultESG_SG_EENS6_6detail15normal_iteratorINS6_10device_ptrIfEEEES8_S8_S8_S8_S8_S8_S8_S8_EEEE15transform_tupleIifEEEPS9_S9_12reduce_tupleIifEEE10hipError_tPvRmT1_T2_T3_mT4_P12ihipStream_tbEUlT_E0_NS1_11comp_targetILNS1_3genE10ELNS1_11target_archE1201ELNS1_3gpuE5ELNS1_3repE0EEENS1_30default_config_static_selectorELNS0_4arch9wavefront6targetE1EEEvSY_,@function
_ZN7rocprim17ROCPRIM_400000_NS6detail17trampoline_kernelINS0_14default_configENS1_22reduce_config_selectorIN6thrust23THRUST_200600_302600_NS5tupleIbffNS6_9null_typeES8_S8_S8_S8_S8_S8_EEEEZNS1_11reduce_implILb1ES3_NS6_11hip_rocprim26transform_input_iterator_tIS9_NS6_12zip_iteratorINS7_INS6_17counting_iteratorIiNS6_11use_defaultESG_SG_EENS6_6detail15normal_iteratorINS6_10device_ptrIfEEEES8_S8_S8_S8_S8_S8_S8_S8_EEEE15transform_tupleIifEEEPS9_S9_12reduce_tupleIifEEE10hipError_tPvRmT1_T2_T3_mT4_P12ihipStream_tbEUlT_E0_NS1_11comp_targetILNS1_3genE10ELNS1_11target_archE1201ELNS1_3gpuE5ELNS1_3repE0EEENS1_30default_config_static_selectorELNS0_4arch9wavefront6targetE1EEEvSY_: ; @_ZN7rocprim17ROCPRIM_400000_NS6detail17trampoline_kernelINS0_14default_configENS1_22reduce_config_selectorIN6thrust23THRUST_200600_302600_NS5tupleIbffNS6_9null_typeES8_S8_S8_S8_S8_S8_EEEEZNS1_11reduce_implILb1ES3_NS6_11hip_rocprim26transform_input_iterator_tIS9_NS6_12zip_iteratorINS7_INS6_17counting_iteratorIiNS6_11use_defaultESG_SG_EENS6_6detail15normal_iteratorINS6_10device_ptrIfEEEES8_S8_S8_S8_S8_S8_S8_S8_EEEE15transform_tupleIifEEEPS9_S9_12reduce_tupleIifEEE10hipError_tPvRmT1_T2_T3_mT4_P12ihipStream_tbEUlT_E0_NS1_11comp_targetILNS1_3genE10ELNS1_11target_archE1201ELNS1_3gpuE5ELNS1_3repE0EEENS1_30default_config_static_selectorELNS0_4arch9wavefront6targetE1EEEvSY_
; %bb.0:
	.section	.rodata,"a",@progbits
	.p2align	6, 0x0
	.amdhsa_kernel _ZN7rocprim17ROCPRIM_400000_NS6detail17trampoline_kernelINS0_14default_configENS1_22reduce_config_selectorIN6thrust23THRUST_200600_302600_NS5tupleIbffNS6_9null_typeES8_S8_S8_S8_S8_S8_EEEEZNS1_11reduce_implILb1ES3_NS6_11hip_rocprim26transform_input_iterator_tIS9_NS6_12zip_iteratorINS7_INS6_17counting_iteratorIiNS6_11use_defaultESG_SG_EENS6_6detail15normal_iteratorINS6_10device_ptrIfEEEES8_S8_S8_S8_S8_S8_S8_S8_EEEE15transform_tupleIifEEEPS9_S9_12reduce_tupleIifEEE10hipError_tPvRmT1_T2_T3_mT4_P12ihipStream_tbEUlT_E0_NS1_11comp_targetILNS1_3genE10ELNS1_11target_archE1201ELNS1_3gpuE5ELNS1_3repE0EEENS1_30default_config_static_selectorELNS0_4arch9wavefront6targetE1EEEvSY_
		.amdhsa_group_segment_fixed_size 0
		.amdhsa_private_segment_fixed_size 0
		.amdhsa_kernarg_size 80
		.amdhsa_user_sgpr_count 6
		.amdhsa_user_sgpr_private_segment_buffer 1
		.amdhsa_user_sgpr_dispatch_ptr 0
		.amdhsa_user_sgpr_queue_ptr 0
		.amdhsa_user_sgpr_kernarg_segment_ptr 1
		.amdhsa_user_sgpr_dispatch_id 0
		.amdhsa_user_sgpr_flat_scratch_init 0
		.amdhsa_user_sgpr_private_segment_size 0
		.amdhsa_uses_dynamic_stack 0
		.amdhsa_system_sgpr_private_segment_wavefront_offset 0
		.amdhsa_system_sgpr_workgroup_id_x 1
		.amdhsa_system_sgpr_workgroup_id_y 0
		.amdhsa_system_sgpr_workgroup_id_z 0
		.amdhsa_system_sgpr_workgroup_info 0
		.amdhsa_system_vgpr_workitem_id 0
		.amdhsa_next_free_vgpr 1
		.amdhsa_next_free_sgpr 0
		.amdhsa_reserve_vcc 0
		.amdhsa_reserve_flat_scratch 0
		.amdhsa_float_round_mode_32 0
		.amdhsa_float_round_mode_16_64 0
		.amdhsa_float_denorm_mode_32 3
		.amdhsa_float_denorm_mode_16_64 3
		.amdhsa_dx10_clamp 1
		.amdhsa_ieee_mode 1
		.amdhsa_fp16_overflow 0
		.amdhsa_exception_fp_ieee_invalid_op 0
		.amdhsa_exception_fp_denorm_src 0
		.amdhsa_exception_fp_ieee_div_zero 0
		.amdhsa_exception_fp_ieee_overflow 0
		.amdhsa_exception_fp_ieee_underflow 0
		.amdhsa_exception_fp_ieee_inexact 0
		.amdhsa_exception_int_div_zero 0
	.end_amdhsa_kernel
	.section	.text._ZN7rocprim17ROCPRIM_400000_NS6detail17trampoline_kernelINS0_14default_configENS1_22reduce_config_selectorIN6thrust23THRUST_200600_302600_NS5tupleIbffNS6_9null_typeES8_S8_S8_S8_S8_S8_EEEEZNS1_11reduce_implILb1ES3_NS6_11hip_rocprim26transform_input_iterator_tIS9_NS6_12zip_iteratorINS7_INS6_17counting_iteratorIiNS6_11use_defaultESG_SG_EENS6_6detail15normal_iteratorINS6_10device_ptrIfEEEES8_S8_S8_S8_S8_S8_S8_S8_EEEE15transform_tupleIifEEEPS9_S9_12reduce_tupleIifEEE10hipError_tPvRmT1_T2_T3_mT4_P12ihipStream_tbEUlT_E0_NS1_11comp_targetILNS1_3genE10ELNS1_11target_archE1201ELNS1_3gpuE5ELNS1_3repE0EEENS1_30default_config_static_selectorELNS0_4arch9wavefront6targetE1EEEvSY_,"axG",@progbits,_ZN7rocprim17ROCPRIM_400000_NS6detail17trampoline_kernelINS0_14default_configENS1_22reduce_config_selectorIN6thrust23THRUST_200600_302600_NS5tupleIbffNS6_9null_typeES8_S8_S8_S8_S8_S8_EEEEZNS1_11reduce_implILb1ES3_NS6_11hip_rocprim26transform_input_iterator_tIS9_NS6_12zip_iteratorINS7_INS6_17counting_iteratorIiNS6_11use_defaultESG_SG_EENS6_6detail15normal_iteratorINS6_10device_ptrIfEEEES8_S8_S8_S8_S8_S8_S8_S8_EEEE15transform_tupleIifEEEPS9_S9_12reduce_tupleIifEEE10hipError_tPvRmT1_T2_T3_mT4_P12ihipStream_tbEUlT_E0_NS1_11comp_targetILNS1_3genE10ELNS1_11target_archE1201ELNS1_3gpuE5ELNS1_3repE0EEENS1_30default_config_static_selectorELNS0_4arch9wavefront6targetE1EEEvSY_,comdat
.Lfunc_end24:
	.size	_ZN7rocprim17ROCPRIM_400000_NS6detail17trampoline_kernelINS0_14default_configENS1_22reduce_config_selectorIN6thrust23THRUST_200600_302600_NS5tupleIbffNS6_9null_typeES8_S8_S8_S8_S8_S8_EEEEZNS1_11reduce_implILb1ES3_NS6_11hip_rocprim26transform_input_iterator_tIS9_NS6_12zip_iteratorINS7_INS6_17counting_iteratorIiNS6_11use_defaultESG_SG_EENS6_6detail15normal_iteratorINS6_10device_ptrIfEEEES8_S8_S8_S8_S8_S8_S8_S8_EEEE15transform_tupleIifEEEPS9_S9_12reduce_tupleIifEEE10hipError_tPvRmT1_T2_T3_mT4_P12ihipStream_tbEUlT_E0_NS1_11comp_targetILNS1_3genE10ELNS1_11target_archE1201ELNS1_3gpuE5ELNS1_3repE0EEENS1_30default_config_static_selectorELNS0_4arch9wavefront6targetE1EEEvSY_, .Lfunc_end24-_ZN7rocprim17ROCPRIM_400000_NS6detail17trampoline_kernelINS0_14default_configENS1_22reduce_config_selectorIN6thrust23THRUST_200600_302600_NS5tupleIbffNS6_9null_typeES8_S8_S8_S8_S8_S8_EEEEZNS1_11reduce_implILb1ES3_NS6_11hip_rocprim26transform_input_iterator_tIS9_NS6_12zip_iteratorINS7_INS6_17counting_iteratorIiNS6_11use_defaultESG_SG_EENS6_6detail15normal_iteratorINS6_10device_ptrIfEEEES8_S8_S8_S8_S8_S8_S8_S8_EEEE15transform_tupleIifEEEPS9_S9_12reduce_tupleIifEEE10hipError_tPvRmT1_T2_T3_mT4_P12ihipStream_tbEUlT_E0_NS1_11comp_targetILNS1_3genE10ELNS1_11target_archE1201ELNS1_3gpuE5ELNS1_3repE0EEENS1_30default_config_static_selectorELNS0_4arch9wavefront6targetE1EEEvSY_
                                        ; -- End function
	.set _ZN7rocprim17ROCPRIM_400000_NS6detail17trampoline_kernelINS0_14default_configENS1_22reduce_config_selectorIN6thrust23THRUST_200600_302600_NS5tupleIbffNS6_9null_typeES8_S8_S8_S8_S8_S8_EEEEZNS1_11reduce_implILb1ES3_NS6_11hip_rocprim26transform_input_iterator_tIS9_NS6_12zip_iteratorINS7_INS6_17counting_iteratorIiNS6_11use_defaultESG_SG_EENS6_6detail15normal_iteratorINS6_10device_ptrIfEEEES8_S8_S8_S8_S8_S8_S8_S8_EEEE15transform_tupleIifEEEPS9_S9_12reduce_tupleIifEEE10hipError_tPvRmT1_T2_T3_mT4_P12ihipStream_tbEUlT_E0_NS1_11comp_targetILNS1_3genE10ELNS1_11target_archE1201ELNS1_3gpuE5ELNS1_3repE0EEENS1_30default_config_static_selectorELNS0_4arch9wavefront6targetE1EEEvSY_.num_vgpr, 0
	.set _ZN7rocprim17ROCPRIM_400000_NS6detail17trampoline_kernelINS0_14default_configENS1_22reduce_config_selectorIN6thrust23THRUST_200600_302600_NS5tupleIbffNS6_9null_typeES8_S8_S8_S8_S8_S8_EEEEZNS1_11reduce_implILb1ES3_NS6_11hip_rocprim26transform_input_iterator_tIS9_NS6_12zip_iteratorINS7_INS6_17counting_iteratorIiNS6_11use_defaultESG_SG_EENS6_6detail15normal_iteratorINS6_10device_ptrIfEEEES8_S8_S8_S8_S8_S8_S8_S8_EEEE15transform_tupleIifEEEPS9_S9_12reduce_tupleIifEEE10hipError_tPvRmT1_T2_T3_mT4_P12ihipStream_tbEUlT_E0_NS1_11comp_targetILNS1_3genE10ELNS1_11target_archE1201ELNS1_3gpuE5ELNS1_3repE0EEENS1_30default_config_static_selectorELNS0_4arch9wavefront6targetE1EEEvSY_.num_agpr, 0
	.set _ZN7rocprim17ROCPRIM_400000_NS6detail17trampoline_kernelINS0_14default_configENS1_22reduce_config_selectorIN6thrust23THRUST_200600_302600_NS5tupleIbffNS6_9null_typeES8_S8_S8_S8_S8_S8_EEEEZNS1_11reduce_implILb1ES3_NS6_11hip_rocprim26transform_input_iterator_tIS9_NS6_12zip_iteratorINS7_INS6_17counting_iteratorIiNS6_11use_defaultESG_SG_EENS6_6detail15normal_iteratorINS6_10device_ptrIfEEEES8_S8_S8_S8_S8_S8_S8_S8_EEEE15transform_tupleIifEEEPS9_S9_12reduce_tupleIifEEE10hipError_tPvRmT1_T2_T3_mT4_P12ihipStream_tbEUlT_E0_NS1_11comp_targetILNS1_3genE10ELNS1_11target_archE1201ELNS1_3gpuE5ELNS1_3repE0EEENS1_30default_config_static_selectorELNS0_4arch9wavefront6targetE1EEEvSY_.numbered_sgpr, 0
	.set _ZN7rocprim17ROCPRIM_400000_NS6detail17trampoline_kernelINS0_14default_configENS1_22reduce_config_selectorIN6thrust23THRUST_200600_302600_NS5tupleIbffNS6_9null_typeES8_S8_S8_S8_S8_S8_EEEEZNS1_11reduce_implILb1ES3_NS6_11hip_rocprim26transform_input_iterator_tIS9_NS6_12zip_iteratorINS7_INS6_17counting_iteratorIiNS6_11use_defaultESG_SG_EENS6_6detail15normal_iteratorINS6_10device_ptrIfEEEES8_S8_S8_S8_S8_S8_S8_S8_EEEE15transform_tupleIifEEEPS9_S9_12reduce_tupleIifEEE10hipError_tPvRmT1_T2_T3_mT4_P12ihipStream_tbEUlT_E0_NS1_11comp_targetILNS1_3genE10ELNS1_11target_archE1201ELNS1_3gpuE5ELNS1_3repE0EEENS1_30default_config_static_selectorELNS0_4arch9wavefront6targetE1EEEvSY_.num_named_barrier, 0
	.set _ZN7rocprim17ROCPRIM_400000_NS6detail17trampoline_kernelINS0_14default_configENS1_22reduce_config_selectorIN6thrust23THRUST_200600_302600_NS5tupleIbffNS6_9null_typeES8_S8_S8_S8_S8_S8_EEEEZNS1_11reduce_implILb1ES3_NS6_11hip_rocprim26transform_input_iterator_tIS9_NS6_12zip_iteratorINS7_INS6_17counting_iteratorIiNS6_11use_defaultESG_SG_EENS6_6detail15normal_iteratorINS6_10device_ptrIfEEEES8_S8_S8_S8_S8_S8_S8_S8_EEEE15transform_tupleIifEEEPS9_S9_12reduce_tupleIifEEE10hipError_tPvRmT1_T2_T3_mT4_P12ihipStream_tbEUlT_E0_NS1_11comp_targetILNS1_3genE10ELNS1_11target_archE1201ELNS1_3gpuE5ELNS1_3repE0EEENS1_30default_config_static_selectorELNS0_4arch9wavefront6targetE1EEEvSY_.private_seg_size, 0
	.set _ZN7rocprim17ROCPRIM_400000_NS6detail17trampoline_kernelINS0_14default_configENS1_22reduce_config_selectorIN6thrust23THRUST_200600_302600_NS5tupleIbffNS6_9null_typeES8_S8_S8_S8_S8_S8_EEEEZNS1_11reduce_implILb1ES3_NS6_11hip_rocprim26transform_input_iterator_tIS9_NS6_12zip_iteratorINS7_INS6_17counting_iteratorIiNS6_11use_defaultESG_SG_EENS6_6detail15normal_iteratorINS6_10device_ptrIfEEEES8_S8_S8_S8_S8_S8_S8_S8_EEEE15transform_tupleIifEEEPS9_S9_12reduce_tupleIifEEE10hipError_tPvRmT1_T2_T3_mT4_P12ihipStream_tbEUlT_E0_NS1_11comp_targetILNS1_3genE10ELNS1_11target_archE1201ELNS1_3gpuE5ELNS1_3repE0EEENS1_30default_config_static_selectorELNS0_4arch9wavefront6targetE1EEEvSY_.uses_vcc, 0
	.set _ZN7rocprim17ROCPRIM_400000_NS6detail17trampoline_kernelINS0_14default_configENS1_22reduce_config_selectorIN6thrust23THRUST_200600_302600_NS5tupleIbffNS6_9null_typeES8_S8_S8_S8_S8_S8_EEEEZNS1_11reduce_implILb1ES3_NS6_11hip_rocprim26transform_input_iterator_tIS9_NS6_12zip_iteratorINS7_INS6_17counting_iteratorIiNS6_11use_defaultESG_SG_EENS6_6detail15normal_iteratorINS6_10device_ptrIfEEEES8_S8_S8_S8_S8_S8_S8_S8_EEEE15transform_tupleIifEEEPS9_S9_12reduce_tupleIifEEE10hipError_tPvRmT1_T2_T3_mT4_P12ihipStream_tbEUlT_E0_NS1_11comp_targetILNS1_3genE10ELNS1_11target_archE1201ELNS1_3gpuE5ELNS1_3repE0EEENS1_30default_config_static_selectorELNS0_4arch9wavefront6targetE1EEEvSY_.uses_flat_scratch, 0
	.set _ZN7rocprim17ROCPRIM_400000_NS6detail17trampoline_kernelINS0_14default_configENS1_22reduce_config_selectorIN6thrust23THRUST_200600_302600_NS5tupleIbffNS6_9null_typeES8_S8_S8_S8_S8_S8_EEEEZNS1_11reduce_implILb1ES3_NS6_11hip_rocprim26transform_input_iterator_tIS9_NS6_12zip_iteratorINS7_INS6_17counting_iteratorIiNS6_11use_defaultESG_SG_EENS6_6detail15normal_iteratorINS6_10device_ptrIfEEEES8_S8_S8_S8_S8_S8_S8_S8_EEEE15transform_tupleIifEEEPS9_S9_12reduce_tupleIifEEE10hipError_tPvRmT1_T2_T3_mT4_P12ihipStream_tbEUlT_E0_NS1_11comp_targetILNS1_3genE10ELNS1_11target_archE1201ELNS1_3gpuE5ELNS1_3repE0EEENS1_30default_config_static_selectorELNS0_4arch9wavefront6targetE1EEEvSY_.has_dyn_sized_stack, 0
	.set _ZN7rocprim17ROCPRIM_400000_NS6detail17trampoline_kernelINS0_14default_configENS1_22reduce_config_selectorIN6thrust23THRUST_200600_302600_NS5tupleIbffNS6_9null_typeES8_S8_S8_S8_S8_S8_EEEEZNS1_11reduce_implILb1ES3_NS6_11hip_rocprim26transform_input_iterator_tIS9_NS6_12zip_iteratorINS7_INS6_17counting_iteratorIiNS6_11use_defaultESG_SG_EENS6_6detail15normal_iteratorINS6_10device_ptrIfEEEES8_S8_S8_S8_S8_S8_S8_S8_EEEE15transform_tupleIifEEEPS9_S9_12reduce_tupleIifEEE10hipError_tPvRmT1_T2_T3_mT4_P12ihipStream_tbEUlT_E0_NS1_11comp_targetILNS1_3genE10ELNS1_11target_archE1201ELNS1_3gpuE5ELNS1_3repE0EEENS1_30default_config_static_selectorELNS0_4arch9wavefront6targetE1EEEvSY_.has_recursion, 0
	.set _ZN7rocprim17ROCPRIM_400000_NS6detail17trampoline_kernelINS0_14default_configENS1_22reduce_config_selectorIN6thrust23THRUST_200600_302600_NS5tupleIbffNS6_9null_typeES8_S8_S8_S8_S8_S8_EEEEZNS1_11reduce_implILb1ES3_NS6_11hip_rocprim26transform_input_iterator_tIS9_NS6_12zip_iteratorINS7_INS6_17counting_iteratorIiNS6_11use_defaultESG_SG_EENS6_6detail15normal_iteratorINS6_10device_ptrIfEEEES8_S8_S8_S8_S8_S8_S8_S8_EEEE15transform_tupleIifEEEPS9_S9_12reduce_tupleIifEEE10hipError_tPvRmT1_T2_T3_mT4_P12ihipStream_tbEUlT_E0_NS1_11comp_targetILNS1_3genE10ELNS1_11target_archE1201ELNS1_3gpuE5ELNS1_3repE0EEENS1_30default_config_static_selectorELNS0_4arch9wavefront6targetE1EEEvSY_.has_indirect_call, 0
	.section	.AMDGPU.csdata,"",@progbits
; Kernel info:
; codeLenInByte = 0
; TotalNumSgprs: 4
; NumVgprs: 0
; ScratchSize: 0
; MemoryBound: 0
; FloatMode: 240
; IeeeMode: 1
; LDSByteSize: 0 bytes/workgroup (compile time only)
; SGPRBlocks: 0
; VGPRBlocks: 0
; NumSGPRsForWavesPerEU: 4
; NumVGPRsForWavesPerEU: 1
; Occupancy: 10
; WaveLimiterHint : 0
; COMPUTE_PGM_RSRC2:SCRATCH_EN: 0
; COMPUTE_PGM_RSRC2:USER_SGPR: 6
; COMPUTE_PGM_RSRC2:TRAP_HANDLER: 0
; COMPUTE_PGM_RSRC2:TGID_X_EN: 1
; COMPUTE_PGM_RSRC2:TGID_Y_EN: 0
; COMPUTE_PGM_RSRC2:TGID_Z_EN: 0
; COMPUTE_PGM_RSRC2:TIDIG_COMP_CNT: 0
	.section	.text._ZN7rocprim17ROCPRIM_400000_NS6detail17trampoline_kernelINS0_14default_configENS1_22reduce_config_selectorIN6thrust23THRUST_200600_302600_NS5tupleIbffNS6_9null_typeES8_S8_S8_S8_S8_S8_EEEEZNS1_11reduce_implILb1ES3_NS6_11hip_rocprim26transform_input_iterator_tIS9_NS6_12zip_iteratorINS7_INS6_17counting_iteratorIiNS6_11use_defaultESG_SG_EENS6_6detail15normal_iteratorINS6_10device_ptrIfEEEES8_S8_S8_S8_S8_S8_S8_S8_EEEE15transform_tupleIifEEEPS9_S9_12reduce_tupleIifEEE10hipError_tPvRmT1_T2_T3_mT4_P12ihipStream_tbEUlT_E0_NS1_11comp_targetILNS1_3genE10ELNS1_11target_archE1200ELNS1_3gpuE4ELNS1_3repE0EEENS1_30default_config_static_selectorELNS0_4arch9wavefront6targetE1EEEvSY_,"axG",@progbits,_ZN7rocprim17ROCPRIM_400000_NS6detail17trampoline_kernelINS0_14default_configENS1_22reduce_config_selectorIN6thrust23THRUST_200600_302600_NS5tupleIbffNS6_9null_typeES8_S8_S8_S8_S8_S8_EEEEZNS1_11reduce_implILb1ES3_NS6_11hip_rocprim26transform_input_iterator_tIS9_NS6_12zip_iteratorINS7_INS6_17counting_iteratorIiNS6_11use_defaultESG_SG_EENS6_6detail15normal_iteratorINS6_10device_ptrIfEEEES8_S8_S8_S8_S8_S8_S8_S8_EEEE15transform_tupleIifEEEPS9_S9_12reduce_tupleIifEEE10hipError_tPvRmT1_T2_T3_mT4_P12ihipStream_tbEUlT_E0_NS1_11comp_targetILNS1_3genE10ELNS1_11target_archE1200ELNS1_3gpuE4ELNS1_3repE0EEENS1_30default_config_static_selectorELNS0_4arch9wavefront6targetE1EEEvSY_,comdat
	.protected	_ZN7rocprim17ROCPRIM_400000_NS6detail17trampoline_kernelINS0_14default_configENS1_22reduce_config_selectorIN6thrust23THRUST_200600_302600_NS5tupleIbffNS6_9null_typeES8_S8_S8_S8_S8_S8_EEEEZNS1_11reduce_implILb1ES3_NS6_11hip_rocprim26transform_input_iterator_tIS9_NS6_12zip_iteratorINS7_INS6_17counting_iteratorIiNS6_11use_defaultESG_SG_EENS6_6detail15normal_iteratorINS6_10device_ptrIfEEEES8_S8_S8_S8_S8_S8_S8_S8_EEEE15transform_tupleIifEEEPS9_S9_12reduce_tupleIifEEE10hipError_tPvRmT1_T2_T3_mT4_P12ihipStream_tbEUlT_E0_NS1_11comp_targetILNS1_3genE10ELNS1_11target_archE1200ELNS1_3gpuE4ELNS1_3repE0EEENS1_30default_config_static_selectorELNS0_4arch9wavefront6targetE1EEEvSY_ ; -- Begin function _ZN7rocprim17ROCPRIM_400000_NS6detail17trampoline_kernelINS0_14default_configENS1_22reduce_config_selectorIN6thrust23THRUST_200600_302600_NS5tupleIbffNS6_9null_typeES8_S8_S8_S8_S8_S8_EEEEZNS1_11reduce_implILb1ES3_NS6_11hip_rocprim26transform_input_iterator_tIS9_NS6_12zip_iteratorINS7_INS6_17counting_iteratorIiNS6_11use_defaultESG_SG_EENS6_6detail15normal_iteratorINS6_10device_ptrIfEEEES8_S8_S8_S8_S8_S8_S8_S8_EEEE15transform_tupleIifEEEPS9_S9_12reduce_tupleIifEEE10hipError_tPvRmT1_T2_T3_mT4_P12ihipStream_tbEUlT_E0_NS1_11comp_targetILNS1_3genE10ELNS1_11target_archE1200ELNS1_3gpuE4ELNS1_3repE0EEENS1_30default_config_static_selectorELNS0_4arch9wavefront6targetE1EEEvSY_
	.globl	_ZN7rocprim17ROCPRIM_400000_NS6detail17trampoline_kernelINS0_14default_configENS1_22reduce_config_selectorIN6thrust23THRUST_200600_302600_NS5tupleIbffNS6_9null_typeES8_S8_S8_S8_S8_S8_EEEEZNS1_11reduce_implILb1ES3_NS6_11hip_rocprim26transform_input_iterator_tIS9_NS6_12zip_iteratorINS7_INS6_17counting_iteratorIiNS6_11use_defaultESG_SG_EENS6_6detail15normal_iteratorINS6_10device_ptrIfEEEES8_S8_S8_S8_S8_S8_S8_S8_EEEE15transform_tupleIifEEEPS9_S9_12reduce_tupleIifEEE10hipError_tPvRmT1_T2_T3_mT4_P12ihipStream_tbEUlT_E0_NS1_11comp_targetILNS1_3genE10ELNS1_11target_archE1200ELNS1_3gpuE4ELNS1_3repE0EEENS1_30default_config_static_selectorELNS0_4arch9wavefront6targetE1EEEvSY_
	.p2align	8
	.type	_ZN7rocprim17ROCPRIM_400000_NS6detail17trampoline_kernelINS0_14default_configENS1_22reduce_config_selectorIN6thrust23THRUST_200600_302600_NS5tupleIbffNS6_9null_typeES8_S8_S8_S8_S8_S8_EEEEZNS1_11reduce_implILb1ES3_NS6_11hip_rocprim26transform_input_iterator_tIS9_NS6_12zip_iteratorINS7_INS6_17counting_iteratorIiNS6_11use_defaultESG_SG_EENS6_6detail15normal_iteratorINS6_10device_ptrIfEEEES8_S8_S8_S8_S8_S8_S8_S8_EEEE15transform_tupleIifEEEPS9_S9_12reduce_tupleIifEEE10hipError_tPvRmT1_T2_T3_mT4_P12ihipStream_tbEUlT_E0_NS1_11comp_targetILNS1_3genE10ELNS1_11target_archE1200ELNS1_3gpuE4ELNS1_3repE0EEENS1_30default_config_static_selectorELNS0_4arch9wavefront6targetE1EEEvSY_,@function
_ZN7rocprim17ROCPRIM_400000_NS6detail17trampoline_kernelINS0_14default_configENS1_22reduce_config_selectorIN6thrust23THRUST_200600_302600_NS5tupleIbffNS6_9null_typeES8_S8_S8_S8_S8_S8_EEEEZNS1_11reduce_implILb1ES3_NS6_11hip_rocprim26transform_input_iterator_tIS9_NS6_12zip_iteratorINS7_INS6_17counting_iteratorIiNS6_11use_defaultESG_SG_EENS6_6detail15normal_iteratorINS6_10device_ptrIfEEEES8_S8_S8_S8_S8_S8_S8_S8_EEEE15transform_tupleIifEEEPS9_S9_12reduce_tupleIifEEE10hipError_tPvRmT1_T2_T3_mT4_P12ihipStream_tbEUlT_E0_NS1_11comp_targetILNS1_3genE10ELNS1_11target_archE1200ELNS1_3gpuE4ELNS1_3repE0EEENS1_30default_config_static_selectorELNS0_4arch9wavefront6targetE1EEEvSY_: ; @_ZN7rocprim17ROCPRIM_400000_NS6detail17trampoline_kernelINS0_14default_configENS1_22reduce_config_selectorIN6thrust23THRUST_200600_302600_NS5tupleIbffNS6_9null_typeES8_S8_S8_S8_S8_S8_EEEEZNS1_11reduce_implILb1ES3_NS6_11hip_rocprim26transform_input_iterator_tIS9_NS6_12zip_iteratorINS7_INS6_17counting_iteratorIiNS6_11use_defaultESG_SG_EENS6_6detail15normal_iteratorINS6_10device_ptrIfEEEES8_S8_S8_S8_S8_S8_S8_S8_EEEE15transform_tupleIifEEEPS9_S9_12reduce_tupleIifEEE10hipError_tPvRmT1_T2_T3_mT4_P12ihipStream_tbEUlT_E0_NS1_11comp_targetILNS1_3genE10ELNS1_11target_archE1200ELNS1_3gpuE4ELNS1_3repE0EEENS1_30default_config_static_selectorELNS0_4arch9wavefront6targetE1EEEvSY_
; %bb.0:
	.section	.rodata,"a",@progbits
	.p2align	6, 0x0
	.amdhsa_kernel _ZN7rocprim17ROCPRIM_400000_NS6detail17trampoline_kernelINS0_14default_configENS1_22reduce_config_selectorIN6thrust23THRUST_200600_302600_NS5tupleIbffNS6_9null_typeES8_S8_S8_S8_S8_S8_EEEEZNS1_11reduce_implILb1ES3_NS6_11hip_rocprim26transform_input_iterator_tIS9_NS6_12zip_iteratorINS7_INS6_17counting_iteratorIiNS6_11use_defaultESG_SG_EENS6_6detail15normal_iteratorINS6_10device_ptrIfEEEES8_S8_S8_S8_S8_S8_S8_S8_EEEE15transform_tupleIifEEEPS9_S9_12reduce_tupleIifEEE10hipError_tPvRmT1_T2_T3_mT4_P12ihipStream_tbEUlT_E0_NS1_11comp_targetILNS1_3genE10ELNS1_11target_archE1200ELNS1_3gpuE4ELNS1_3repE0EEENS1_30default_config_static_selectorELNS0_4arch9wavefront6targetE1EEEvSY_
		.amdhsa_group_segment_fixed_size 0
		.amdhsa_private_segment_fixed_size 0
		.amdhsa_kernarg_size 80
		.amdhsa_user_sgpr_count 6
		.amdhsa_user_sgpr_private_segment_buffer 1
		.amdhsa_user_sgpr_dispatch_ptr 0
		.amdhsa_user_sgpr_queue_ptr 0
		.amdhsa_user_sgpr_kernarg_segment_ptr 1
		.amdhsa_user_sgpr_dispatch_id 0
		.amdhsa_user_sgpr_flat_scratch_init 0
		.amdhsa_user_sgpr_private_segment_size 0
		.amdhsa_uses_dynamic_stack 0
		.amdhsa_system_sgpr_private_segment_wavefront_offset 0
		.amdhsa_system_sgpr_workgroup_id_x 1
		.amdhsa_system_sgpr_workgroup_id_y 0
		.amdhsa_system_sgpr_workgroup_id_z 0
		.amdhsa_system_sgpr_workgroup_info 0
		.amdhsa_system_vgpr_workitem_id 0
		.amdhsa_next_free_vgpr 1
		.amdhsa_next_free_sgpr 0
		.amdhsa_reserve_vcc 0
		.amdhsa_reserve_flat_scratch 0
		.amdhsa_float_round_mode_32 0
		.amdhsa_float_round_mode_16_64 0
		.amdhsa_float_denorm_mode_32 3
		.amdhsa_float_denorm_mode_16_64 3
		.amdhsa_dx10_clamp 1
		.amdhsa_ieee_mode 1
		.amdhsa_fp16_overflow 0
		.amdhsa_exception_fp_ieee_invalid_op 0
		.amdhsa_exception_fp_denorm_src 0
		.amdhsa_exception_fp_ieee_div_zero 0
		.amdhsa_exception_fp_ieee_overflow 0
		.amdhsa_exception_fp_ieee_underflow 0
		.amdhsa_exception_fp_ieee_inexact 0
		.amdhsa_exception_int_div_zero 0
	.end_amdhsa_kernel
	.section	.text._ZN7rocprim17ROCPRIM_400000_NS6detail17trampoline_kernelINS0_14default_configENS1_22reduce_config_selectorIN6thrust23THRUST_200600_302600_NS5tupleIbffNS6_9null_typeES8_S8_S8_S8_S8_S8_EEEEZNS1_11reduce_implILb1ES3_NS6_11hip_rocprim26transform_input_iterator_tIS9_NS6_12zip_iteratorINS7_INS6_17counting_iteratorIiNS6_11use_defaultESG_SG_EENS6_6detail15normal_iteratorINS6_10device_ptrIfEEEES8_S8_S8_S8_S8_S8_S8_S8_EEEE15transform_tupleIifEEEPS9_S9_12reduce_tupleIifEEE10hipError_tPvRmT1_T2_T3_mT4_P12ihipStream_tbEUlT_E0_NS1_11comp_targetILNS1_3genE10ELNS1_11target_archE1200ELNS1_3gpuE4ELNS1_3repE0EEENS1_30default_config_static_selectorELNS0_4arch9wavefront6targetE1EEEvSY_,"axG",@progbits,_ZN7rocprim17ROCPRIM_400000_NS6detail17trampoline_kernelINS0_14default_configENS1_22reduce_config_selectorIN6thrust23THRUST_200600_302600_NS5tupleIbffNS6_9null_typeES8_S8_S8_S8_S8_S8_EEEEZNS1_11reduce_implILb1ES3_NS6_11hip_rocprim26transform_input_iterator_tIS9_NS6_12zip_iteratorINS7_INS6_17counting_iteratorIiNS6_11use_defaultESG_SG_EENS6_6detail15normal_iteratorINS6_10device_ptrIfEEEES8_S8_S8_S8_S8_S8_S8_S8_EEEE15transform_tupleIifEEEPS9_S9_12reduce_tupleIifEEE10hipError_tPvRmT1_T2_T3_mT4_P12ihipStream_tbEUlT_E0_NS1_11comp_targetILNS1_3genE10ELNS1_11target_archE1200ELNS1_3gpuE4ELNS1_3repE0EEENS1_30default_config_static_selectorELNS0_4arch9wavefront6targetE1EEEvSY_,comdat
.Lfunc_end25:
	.size	_ZN7rocprim17ROCPRIM_400000_NS6detail17trampoline_kernelINS0_14default_configENS1_22reduce_config_selectorIN6thrust23THRUST_200600_302600_NS5tupleIbffNS6_9null_typeES8_S8_S8_S8_S8_S8_EEEEZNS1_11reduce_implILb1ES3_NS6_11hip_rocprim26transform_input_iterator_tIS9_NS6_12zip_iteratorINS7_INS6_17counting_iteratorIiNS6_11use_defaultESG_SG_EENS6_6detail15normal_iteratorINS6_10device_ptrIfEEEES8_S8_S8_S8_S8_S8_S8_S8_EEEE15transform_tupleIifEEEPS9_S9_12reduce_tupleIifEEE10hipError_tPvRmT1_T2_T3_mT4_P12ihipStream_tbEUlT_E0_NS1_11comp_targetILNS1_3genE10ELNS1_11target_archE1200ELNS1_3gpuE4ELNS1_3repE0EEENS1_30default_config_static_selectorELNS0_4arch9wavefront6targetE1EEEvSY_, .Lfunc_end25-_ZN7rocprim17ROCPRIM_400000_NS6detail17trampoline_kernelINS0_14default_configENS1_22reduce_config_selectorIN6thrust23THRUST_200600_302600_NS5tupleIbffNS6_9null_typeES8_S8_S8_S8_S8_S8_EEEEZNS1_11reduce_implILb1ES3_NS6_11hip_rocprim26transform_input_iterator_tIS9_NS6_12zip_iteratorINS7_INS6_17counting_iteratorIiNS6_11use_defaultESG_SG_EENS6_6detail15normal_iteratorINS6_10device_ptrIfEEEES8_S8_S8_S8_S8_S8_S8_S8_EEEE15transform_tupleIifEEEPS9_S9_12reduce_tupleIifEEE10hipError_tPvRmT1_T2_T3_mT4_P12ihipStream_tbEUlT_E0_NS1_11comp_targetILNS1_3genE10ELNS1_11target_archE1200ELNS1_3gpuE4ELNS1_3repE0EEENS1_30default_config_static_selectorELNS0_4arch9wavefront6targetE1EEEvSY_
                                        ; -- End function
	.set _ZN7rocprim17ROCPRIM_400000_NS6detail17trampoline_kernelINS0_14default_configENS1_22reduce_config_selectorIN6thrust23THRUST_200600_302600_NS5tupleIbffNS6_9null_typeES8_S8_S8_S8_S8_S8_EEEEZNS1_11reduce_implILb1ES3_NS6_11hip_rocprim26transform_input_iterator_tIS9_NS6_12zip_iteratorINS7_INS6_17counting_iteratorIiNS6_11use_defaultESG_SG_EENS6_6detail15normal_iteratorINS6_10device_ptrIfEEEES8_S8_S8_S8_S8_S8_S8_S8_EEEE15transform_tupleIifEEEPS9_S9_12reduce_tupleIifEEE10hipError_tPvRmT1_T2_T3_mT4_P12ihipStream_tbEUlT_E0_NS1_11comp_targetILNS1_3genE10ELNS1_11target_archE1200ELNS1_3gpuE4ELNS1_3repE0EEENS1_30default_config_static_selectorELNS0_4arch9wavefront6targetE1EEEvSY_.num_vgpr, 0
	.set _ZN7rocprim17ROCPRIM_400000_NS6detail17trampoline_kernelINS0_14default_configENS1_22reduce_config_selectorIN6thrust23THRUST_200600_302600_NS5tupleIbffNS6_9null_typeES8_S8_S8_S8_S8_S8_EEEEZNS1_11reduce_implILb1ES3_NS6_11hip_rocprim26transform_input_iterator_tIS9_NS6_12zip_iteratorINS7_INS6_17counting_iteratorIiNS6_11use_defaultESG_SG_EENS6_6detail15normal_iteratorINS6_10device_ptrIfEEEES8_S8_S8_S8_S8_S8_S8_S8_EEEE15transform_tupleIifEEEPS9_S9_12reduce_tupleIifEEE10hipError_tPvRmT1_T2_T3_mT4_P12ihipStream_tbEUlT_E0_NS1_11comp_targetILNS1_3genE10ELNS1_11target_archE1200ELNS1_3gpuE4ELNS1_3repE0EEENS1_30default_config_static_selectorELNS0_4arch9wavefront6targetE1EEEvSY_.num_agpr, 0
	.set _ZN7rocprim17ROCPRIM_400000_NS6detail17trampoline_kernelINS0_14default_configENS1_22reduce_config_selectorIN6thrust23THRUST_200600_302600_NS5tupleIbffNS6_9null_typeES8_S8_S8_S8_S8_S8_EEEEZNS1_11reduce_implILb1ES3_NS6_11hip_rocprim26transform_input_iterator_tIS9_NS6_12zip_iteratorINS7_INS6_17counting_iteratorIiNS6_11use_defaultESG_SG_EENS6_6detail15normal_iteratorINS6_10device_ptrIfEEEES8_S8_S8_S8_S8_S8_S8_S8_EEEE15transform_tupleIifEEEPS9_S9_12reduce_tupleIifEEE10hipError_tPvRmT1_T2_T3_mT4_P12ihipStream_tbEUlT_E0_NS1_11comp_targetILNS1_3genE10ELNS1_11target_archE1200ELNS1_3gpuE4ELNS1_3repE0EEENS1_30default_config_static_selectorELNS0_4arch9wavefront6targetE1EEEvSY_.numbered_sgpr, 0
	.set _ZN7rocprim17ROCPRIM_400000_NS6detail17trampoline_kernelINS0_14default_configENS1_22reduce_config_selectorIN6thrust23THRUST_200600_302600_NS5tupleIbffNS6_9null_typeES8_S8_S8_S8_S8_S8_EEEEZNS1_11reduce_implILb1ES3_NS6_11hip_rocprim26transform_input_iterator_tIS9_NS6_12zip_iteratorINS7_INS6_17counting_iteratorIiNS6_11use_defaultESG_SG_EENS6_6detail15normal_iteratorINS6_10device_ptrIfEEEES8_S8_S8_S8_S8_S8_S8_S8_EEEE15transform_tupleIifEEEPS9_S9_12reduce_tupleIifEEE10hipError_tPvRmT1_T2_T3_mT4_P12ihipStream_tbEUlT_E0_NS1_11comp_targetILNS1_3genE10ELNS1_11target_archE1200ELNS1_3gpuE4ELNS1_3repE0EEENS1_30default_config_static_selectorELNS0_4arch9wavefront6targetE1EEEvSY_.num_named_barrier, 0
	.set _ZN7rocprim17ROCPRIM_400000_NS6detail17trampoline_kernelINS0_14default_configENS1_22reduce_config_selectorIN6thrust23THRUST_200600_302600_NS5tupleIbffNS6_9null_typeES8_S8_S8_S8_S8_S8_EEEEZNS1_11reduce_implILb1ES3_NS6_11hip_rocprim26transform_input_iterator_tIS9_NS6_12zip_iteratorINS7_INS6_17counting_iteratorIiNS6_11use_defaultESG_SG_EENS6_6detail15normal_iteratorINS6_10device_ptrIfEEEES8_S8_S8_S8_S8_S8_S8_S8_EEEE15transform_tupleIifEEEPS9_S9_12reduce_tupleIifEEE10hipError_tPvRmT1_T2_T3_mT4_P12ihipStream_tbEUlT_E0_NS1_11comp_targetILNS1_3genE10ELNS1_11target_archE1200ELNS1_3gpuE4ELNS1_3repE0EEENS1_30default_config_static_selectorELNS0_4arch9wavefront6targetE1EEEvSY_.private_seg_size, 0
	.set _ZN7rocprim17ROCPRIM_400000_NS6detail17trampoline_kernelINS0_14default_configENS1_22reduce_config_selectorIN6thrust23THRUST_200600_302600_NS5tupleIbffNS6_9null_typeES8_S8_S8_S8_S8_S8_EEEEZNS1_11reduce_implILb1ES3_NS6_11hip_rocprim26transform_input_iterator_tIS9_NS6_12zip_iteratorINS7_INS6_17counting_iteratorIiNS6_11use_defaultESG_SG_EENS6_6detail15normal_iteratorINS6_10device_ptrIfEEEES8_S8_S8_S8_S8_S8_S8_S8_EEEE15transform_tupleIifEEEPS9_S9_12reduce_tupleIifEEE10hipError_tPvRmT1_T2_T3_mT4_P12ihipStream_tbEUlT_E0_NS1_11comp_targetILNS1_3genE10ELNS1_11target_archE1200ELNS1_3gpuE4ELNS1_3repE0EEENS1_30default_config_static_selectorELNS0_4arch9wavefront6targetE1EEEvSY_.uses_vcc, 0
	.set _ZN7rocprim17ROCPRIM_400000_NS6detail17trampoline_kernelINS0_14default_configENS1_22reduce_config_selectorIN6thrust23THRUST_200600_302600_NS5tupleIbffNS6_9null_typeES8_S8_S8_S8_S8_S8_EEEEZNS1_11reduce_implILb1ES3_NS6_11hip_rocprim26transform_input_iterator_tIS9_NS6_12zip_iteratorINS7_INS6_17counting_iteratorIiNS6_11use_defaultESG_SG_EENS6_6detail15normal_iteratorINS6_10device_ptrIfEEEES8_S8_S8_S8_S8_S8_S8_S8_EEEE15transform_tupleIifEEEPS9_S9_12reduce_tupleIifEEE10hipError_tPvRmT1_T2_T3_mT4_P12ihipStream_tbEUlT_E0_NS1_11comp_targetILNS1_3genE10ELNS1_11target_archE1200ELNS1_3gpuE4ELNS1_3repE0EEENS1_30default_config_static_selectorELNS0_4arch9wavefront6targetE1EEEvSY_.uses_flat_scratch, 0
	.set _ZN7rocprim17ROCPRIM_400000_NS6detail17trampoline_kernelINS0_14default_configENS1_22reduce_config_selectorIN6thrust23THRUST_200600_302600_NS5tupleIbffNS6_9null_typeES8_S8_S8_S8_S8_S8_EEEEZNS1_11reduce_implILb1ES3_NS6_11hip_rocprim26transform_input_iterator_tIS9_NS6_12zip_iteratorINS7_INS6_17counting_iteratorIiNS6_11use_defaultESG_SG_EENS6_6detail15normal_iteratorINS6_10device_ptrIfEEEES8_S8_S8_S8_S8_S8_S8_S8_EEEE15transform_tupleIifEEEPS9_S9_12reduce_tupleIifEEE10hipError_tPvRmT1_T2_T3_mT4_P12ihipStream_tbEUlT_E0_NS1_11comp_targetILNS1_3genE10ELNS1_11target_archE1200ELNS1_3gpuE4ELNS1_3repE0EEENS1_30default_config_static_selectorELNS0_4arch9wavefront6targetE1EEEvSY_.has_dyn_sized_stack, 0
	.set _ZN7rocprim17ROCPRIM_400000_NS6detail17trampoline_kernelINS0_14default_configENS1_22reduce_config_selectorIN6thrust23THRUST_200600_302600_NS5tupleIbffNS6_9null_typeES8_S8_S8_S8_S8_S8_EEEEZNS1_11reduce_implILb1ES3_NS6_11hip_rocprim26transform_input_iterator_tIS9_NS6_12zip_iteratorINS7_INS6_17counting_iteratorIiNS6_11use_defaultESG_SG_EENS6_6detail15normal_iteratorINS6_10device_ptrIfEEEES8_S8_S8_S8_S8_S8_S8_S8_EEEE15transform_tupleIifEEEPS9_S9_12reduce_tupleIifEEE10hipError_tPvRmT1_T2_T3_mT4_P12ihipStream_tbEUlT_E0_NS1_11comp_targetILNS1_3genE10ELNS1_11target_archE1200ELNS1_3gpuE4ELNS1_3repE0EEENS1_30default_config_static_selectorELNS0_4arch9wavefront6targetE1EEEvSY_.has_recursion, 0
	.set _ZN7rocprim17ROCPRIM_400000_NS6detail17trampoline_kernelINS0_14default_configENS1_22reduce_config_selectorIN6thrust23THRUST_200600_302600_NS5tupleIbffNS6_9null_typeES8_S8_S8_S8_S8_S8_EEEEZNS1_11reduce_implILb1ES3_NS6_11hip_rocprim26transform_input_iterator_tIS9_NS6_12zip_iteratorINS7_INS6_17counting_iteratorIiNS6_11use_defaultESG_SG_EENS6_6detail15normal_iteratorINS6_10device_ptrIfEEEES8_S8_S8_S8_S8_S8_S8_S8_EEEE15transform_tupleIifEEEPS9_S9_12reduce_tupleIifEEE10hipError_tPvRmT1_T2_T3_mT4_P12ihipStream_tbEUlT_E0_NS1_11comp_targetILNS1_3genE10ELNS1_11target_archE1200ELNS1_3gpuE4ELNS1_3repE0EEENS1_30default_config_static_selectorELNS0_4arch9wavefront6targetE1EEEvSY_.has_indirect_call, 0
	.section	.AMDGPU.csdata,"",@progbits
; Kernel info:
; codeLenInByte = 0
; TotalNumSgprs: 4
; NumVgprs: 0
; ScratchSize: 0
; MemoryBound: 0
; FloatMode: 240
; IeeeMode: 1
; LDSByteSize: 0 bytes/workgroup (compile time only)
; SGPRBlocks: 0
; VGPRBlocks: 0
; NumSGPRsForWavesPerEU: 4
; NumVGPRsForWavesPerEU: 1
; Occupancy: 10
; WaveLimiterHint : 0
; COMPUTE_PGM_RSRC2:SCRATCH_EN: 0
; COMPUTE_PGM_RSRC2:USER_SGPR: 6
; COMPUTE_PGM_RSRC2:TRAP_HANDLER: 0
; COMPUTE_PGM_RSRC2:TGID_X_EN: 1
; COMPUTE_PGM_RSRC2:TGID_Y_EN: 0
; COMPUTE_PGM_RSRC2:TGID_Z_EN: 0
; COMPUTE_PGM_RSRC2:TIDIG_COMP_CNT: 0
	.section	.text._ZN7rocprim17ROCPRIM_400000_NS6detail17trampoline_kernelINS0_14default_configENS1_22reduce_config_selectorIN6thrust23THRUST_200600_302600_NS5tupleIbffNS6_9null_typeES8_S8_S8_S8_S8_S8_EEEEZNS1_11reduce_implILb1ES3_NS6_11hip_rocprim26transform_input_iterator_tIS9_NS6_12zip_iteratorINS7_INS6_17counting_iteratorIiNS6_11use_defaultESG_SG_EENS6_6detail15normal_iteratorINS6_10device_ptrIfEEEES8_S8_S8_S8_S8_S8_S8_S8_EEEE15transform_tupleIifEEEPS9_S9_12reduce_tupleIifEEE10hipError_tPvRmT1_T2_T3_mT4_P12ihipStream_tbEUlT_E0_NS1_11comp_targetILNS1_3genE9ELNS1_11target_archE1100ELNS1_3gpuE3ELNS1_3repE0EEENS1_30default_config_static_selectorELNS0_4arch9wavefront6targetE1EEEvSY_,"axG",@progbits,_ZN7rocprim17ROCPRIM_400000_NS6detail17trampoline_kernelINS0_14default_configENS1_22reduce_config_selectorIN6thrust23THRUST_200600_302600_NS5tupleIbffNS6_9null_typeES8_S8_S8_S8_S8_S8_EEEEZNS1_11reduce_implILb1ES3_NS6_11hip_rocprim26transform_input_iterator_tIS9_NS6_12zip_iteratorINS7_INS6_17counting_iteratorIiNS6_11use_defaultESG_SG_EENS6_6detail15normal_iteratorINS6_10device_ptrIfEEEES8_S8_S8_S8_S8_S8_S8_S8_EEEE15transform_tupleIifEEEPS9_S9_12reduce_tupleIifEEE10hipError_tPvRmT1_T2_T3_mT4_P12ihipStream_tbEUlT_E0_NS1_11comp_targetILNS1_3genE9ELNS1_11target_archE1100ELNS1_3gpuE3ELNS1_3repE0EEENS1_30default_config_static_selectorELNS0_4arch9wavefront6targetE1EEEvSY_,comdat
	.protected	_ZN7rocprim17ROCPRIM_400000_NS6detail17trampoline_kernelINS0_14default_configENS1_22reduce_config_selectorIN6thrust23THRUST_200600_302600_NS5tupleIbffNS6_9null_typeES8_S8_S8_S8_S8_S8_EEEEZNS1_11reduce_implILb1ES3_NS6_11hip_rocprim26transform_input_iterator_tIS9_NS6_12zip_iteratorINS7_INS6_17counting_iteratorIiNS6_11use_defaultESG_SG_EENS6_6detail15normal_iteratorINS6_10device_ptrIfEEEES8_S8_S8_S8_S8_S8_S8_S8_EEEE15transform_tupleIifEEEPS9_S9_12reduce_tupleIifEEE10hipError_tPvRmT1_T2_T3_mT4_P12ihipStream_tbEUlT_E0_NS1_11comp_targetILNS1_3genE9ELNS1_11target_archE1100ELNS1_3gpuE3ELNS1_3repE0EEENS1_30default_config_static_selectorELNS0_4arch9wavefront6targetE1EEEvSY_ ; -- Begin function _ZN7rocprim17ROCPRIM_400000_NS6detail17trampoline_kernelINS0_14default_configENS1_22reduce_config_selectorIN6thrust23THRUST_200600_302600_NS5tupleIbffNS6_9null_typeES8_S8_S8_S8_S8_S8_EEEEZNS1_11reduce_implILb1ES3_NS6_11hip_rocprim26transform_input_iterator_tIS9_NS6_12zip_iteratorINS7_INS6_17counting_iteratorIiNS6_11use_defaultESG_SG_EENS6_6detail15normal_iteratorINS6_10device_ptrIfEEEES8_S8_S8_S8_S8_S8_S8_S8_EEEE15transform_tupleIifEEEPS9_S9_12reduce_tupleIifEEE10hipError_tPvRmT1_T2_T3_mT4_P12ihipStream_tbEUlT_E0_NS1_11comp_targetILNS1_3genE9ELNS1_11target_archE1100ELNS1_3gpuE3ELNS1_3repE0EEENS1_30default_config_static_selectorELNS0_4arch9wavefront6targetE1EEEvSY_
	.globl	_ZN7rocprim17ROCPRIM_400000_NS6detail17trampoline_kernelINS0_14default_configENS1_22reduce_config_selectorIN6thrust23THRUST_200600_302600_NS5tupleIbffNS6_9null_typeES8_S8_S8_S8_S8_S8_EEEEZNS1_11reduce_implILb1ES3_NS6_11hip_rocprim26transform_input_iterator_tIS9_NS6_12zip_iteratorINS7_INS6_17counting_iteratorIiNS6_11use_defaultESG_SG_EENS6_6detail15normal_iteratorINS6_10device_ptrIfEEEES8_S8_S8_S8_S8_S8_S8_S8_EEEE15transform_tupleIifEEEPS9_S9_12reduce_tupleIifEEE10hipError_tPvRmT1_T2_T3_mT4_P12ihipStream_tbEUlT_E0_NS1_11comp_targetILNS1_3genE9ELNS1_11target_archE1100ELNS1_3gpuE3ELNS1_3repE0EEENS1_30default_config_static_selectorELNS0_4arch9wavefront6targetE1EEEvSY_
	.p2align	8
	.type	_ZN7rocprim17ROCPRIM_400000_NS6detail17trampoline_kernelINS0_14default_configENS1_22reduce_config_selectorIN6thrust23THRUST_200600_302600_NS5tupleIbffNS6_9null_typeES8_S8_S8_S8_S8_S8_EEEEZNS1_11reduce_implILb1ES3_NS6_11hip_rocprim26transform_input_iterator_tIS9_NS6_12zip_iteratorINS7_INS6_17counting_iteratorIiNS6_11use_defaultESG_SG_EENS6_6detail15normal_iteratorINS6_10device_ptrIfEEEES8_S8_S8_S8_S8_S8_S8_S8_EEEE15transform_tupleIifEEEPS9_S9_12reduce_tupleIifEEE10hipError_tPvRmT1_T2_T3_mT4_P12ihipStream_tbEUlT_E0_NS1_11comp_targetILNS1_3genE9ELNS1_11target_archE1100ELNS1_3gpuE3ELNS1_3repE0EEENS1_30default_config_static_selectorELNS0_4arch9wavefront6targetE1EEEvSY_,@function
_ZN7rocprim17ROCPRIM_400000_NS6detail17trampoline_kernelINS0_14default_configENS1_22reduce_config_selectorIN6thrust23THRUST_200600_302600_NS5tupleIbffNS6_9null_typeES8_S8_S8_S8_S8_S8_EEEEZNS1_11reduce_implILb1ES3_NS6_11hip_rocprim26transform_input_iterator_tIS9_NS6_12zip_iteratorINS7_INS6_17counting_iteratorIiNS6_11use_defaultESG_SG_EENS6_6detail15normal_iteratorINS6_10device_ptrIfEEEES8_S8_S8_S8_S8_S8_S8_S8_EEEE15transform_tupleIifEEEPS9_S9_12reduce_tupleIifEEE10hipError_tPvRmT1_T2_T3_mT4_P12ihipStream_tbEUlT_E0_NS1_11comp_targetILNS1_3genE9ELNS1_11target_archE1100ELNS1_3gpuE3ELNS1_3repE0EEENS1_30default_config_static_selectorELNS0_4arch9wavefront6targetE1EEEvSY_: ; @_ZN7rocprim17ROCPRIM_400000_NS6detail17trampoline_kernelINS0_14default_configENS1_22reduce_config_selectorIN6thrust23THRUST_200600_302600_NS5tupleIbffNS6_9null_typeES8_S8_S8_S8_S8_S8_EEEEZNS1_11reduce_implILb1ES3_NS6_11hip_rocprim26transform_input_iterator_tIS9_NS6_12zip_iteratorINS7_INS6_17counting_iteratorIiNS6_11use_defaultESG_SG_EENS6_6detail15normal_iteratorINS6_10device_ptrIfEEEES8_S8_S8_S8_S8_S8_S8_S8_EEEE15transform_tupleIifEEEPS9_S9_12reduce_tupleIifEEE10hipError_tPvRmT1_T2_T3_mT4_P12ihipStream_tbEUlT_E0_NS1_11comp_targetILNS1_3genE9ELNS1_11target_archE1100ELNS1_3gpuE3ELNS1_3repE0EEENS1_30default_config_static_selectorELNS0_4arch9wavefront6targetE1EEEvSY_
; %bb.0:
	.section	.rodata,"a",@progbits
	.p2align	6, 0x0
	.amdhsa_kernel _ZN7rocprim17ROCPRIM_400000_NS6detail17trampoline_kernelINS0_14default_configENS1_22reduce_config_selectorIN6thrust23THRUST_200600_302600_NS5tupleIbffNS6_9null_typeES8_S8_S8_S8_S8_S8_EEEEZNS1_11reduce_implILb1ES3_NS6_11hip_rocprim26transform_input_iterator_tIS9_NS6_12zip_iteratorINS7_INS6_17counting_iteratorIiNS6_11use_defaultESG_SG_EENS6_6detail15normal_iteratorINS6_10device_ptrIfEEEES8_S8_S8_S8_S8_S8_S8_S8_EEEE15transform_tupleIifEEEPS9_S9_12reduce_tupleIifEEE10hipError_tPvRmT1_T2_T3_mT4_P12ihipStream_tbEUlT_E0_NS1_11comp_targetILNS1_3genE9ELNS1_11target_archE1100ELNS1_3gpuE3ELNS1_3repE0EEENS1_30default_config_static_selectorELNS0_4arch9wavefront6targetE1EEEvSY_
		.amdhsa_group_segment_fixed_size 0
		.amdhsa_private_segment_fixed_size 0
		.amdhsa_kernarg_size 80
		.amdhsa_user_sgpr_count 6
		.amdhsa_user_sgpr_private_segment_buffer 1
		.amdhsa_user_sgpr_dispatch_ptr 0
		.amdhsa_user_sgpr_queue_ptr 0
		.amdhsa_user_sgpr_kernarg_segment_ptr 1
		.amdhsa_user_sgpr_dispatch_id 0
		.amdhsa_user_sgpr_flat_scratch_init 0
		.amdhsa_user_sgpr_private_segment_size 0
		.amdhsa_uses_dynamic_stack 0
		.amdhsa_system_sgpr_private_segment_wavefront_offset 0
		.amdhsa_system_sgpr_workgroup_id_x 1
		.amdhsa_system_sgpr_workgroup_id_y 0
		.amdhsa_system_sgpr_workgroup_id_z 0
		.amdhsa_system_sgpr_workgroup_info 0
		.amdhsa_system_vgpr_workitem_id 0
		.amdhsa_next_free_vgpr 1
		.amdhsa_next_free_sgpr 0
		.amdhsa_reserve_vcc 0
		.amdhsa_reserve_flat_scratch 0
		.amdhsa_float_round_mode_32 0
		.amdhsa_float_round_mode_16_64 0
		.amdhsa_float_denorm_mode_32 3
		.amdhsa_float_denorm_mode_16_64 3
		.amdhsa_dx10_clamp 1
		.amdhsa_ieee_mode 1
		.amdhsa_fp16_overflow 0
		.amdhsa_exception_fp_ieee_invalid_op 0
		.amdhsa_exception_fp_denorm_src 0
		.amdhsa_exception_fp_ieee_div_zero 0
		.amdhsa_exception_fp_ieee_overflow 0
		.amdhsa_exception_fp_ieee_underflow 0
		.amdhsa_exception_fp_ieee_inexact 0
		.amdhsa_exception_int_div_zero 0
	.end_amdhsa_kernel
	.section	.text._ZN7rocprim17ROCPRIM_400000_NS6detail17trampoline_kernelINS0_14default_configENS1_22reduce_config_selectorIN6thrust23THRUST_200600_302600_NS5tupleIbffNS6_9null_typeES8_S8_S8_S8_S8_S8_EEEEZNS1_11reduce_implILb1ES3_NS6_11hip_rocprim26transform_input_iterator_tIS9_NS6_12zip_iteratorINS7_INS6_17counting_iteratorIiNS6_11use_defaultESG_SG_EENS6_6detail15normal_iteratorINS6_10device_ptrIfEEEES8_S8_S8_S8_S8_S8_S8_S8_EEEE15transform_tupleIifEEEPS9_S9_12reduce_tupleIifEEE10hipError_tPvRmT1_T2_T3_mT4_P12ihipStream_tbEUlT_E0_NS1_11comp_targetILNS1_3genE9ELNS1_11target_archE1100ELNS1_3gpuE3ELNS1_3repE0EEENS1_30default_config_static_selectorELNS0_4arch9wavefront6targetE1EEEvSY_,"axG",@progbits,_ZN7rocprim17ROCPRIM_400000_NS6detail17trampoline_kernelINS0_14default_configENS1_22reduce_config_selectorIN6thrust23THRUST_200600_302600_NS5tupleIbffNS6_9null_typeES8_S8_S8_S8_S8_S8_EEEEZNS1_11reduce_implILb1ES3_NS6_11hip_rocprim26transform_input_iterator_tIS9_NS6_12zip_iteratorINS7_INS6_17counting_iteratorIiNS6_11use_defaultESG_SG_EENS6_6detail15normal_iteratorINS6_10device_ptrIfEEEES8_S8_S8_S8_S8_S8_S8_S8_EEEE15transform_tupleIifEEEPS9_S9_12reduce_tupleIifEEE10hipError_tPvRmT1_T2_T3_mT4_P12ihipStream_tbEUlT_E0_NS1_11comp_targetILNS1_3genE9ELNS1_11target_archE1100ELNS1_3gpuE3ELNS1_3repE0EEENS1_30default_config_static_selectorELNS0_4arch9wavefront6targetE1EEEvSY_,comdat
.Lfunc_end26:
	.size	_ZN7rocprim17ROCPRIM_400000_NS6detail17trampoline_kernelINS0_14default_configENS1_22reduce_config_selectorIN6thrust23THRUST_200600_302600_NS5tupleIbffNS6_9null_typeES8_S8_S8_S8_S8_S8_EEEEZNS1_11reduce_implILb1ES3_NS6_11hip_rocprim26transform_input_iterator_tIS9_NS6_12zip_iteratorINS7_INS6_17counting_iteratorIiNS6_11use_defaultESG_SG_EENS6_6detail15normal_iteratorINS6_10device_ptrIfEEEES8_S8_S8_S8_S8_S8_S8_S8_EEEE15transform_tupleIifEEEPS9_S9_12reduce_tupleIifEEE10hipError_tPvRmT1_T2_T3_mT4_P12ihipStream_tbEUlT_E0_NS1_11comp_targetILNS1_3genE9ELNS1_11target_archE1100ELNS1_3gpuE3ELNS1_3repE0EEENS1_30default_config_static_selectorELNS0_4arch9wavefront6targetE1EEEvSY_, .Lfunc_end26-_ZN7rocprim17ROCPRIM_400000_NS6detail17trampoline_kernelINS0_14default_configENS1_22reduce_config_selectorIN6thrust23THRUST_200600_302600_NS5tupleIbffNS6_9null_typeES8_S8_S8_S8_S8_S8_EEEEZNS1_11reduce_implILb1ES3_NS6_11hip_rocprim26transform_input_iterator_tIS9_NS6_12zip_iteratorINS7_INS6_17counting_iteratorIiNS6_11use_defaultESG_SG_EENS6_6detail15normal_iteratorINS6_10device_ptrIfEEEES8_S8_S8_S8_S8_S8_S8_S8_EEEE15transform_tupleIifEEEPS9_S9_12reduce_tupleIifEEE10hipError_tPvRmT1_T2_T3_mT4_P12ihipStream_tbEUlT_E0_NS1_11comp_targetILNS1_3genE9ELNS1_11target_archE1100ELNS1_3gpuE3ELNS1_3repE0EEENS1_30default_config_static_selectorELNS0_4arch9wavefront6targetE1EEEvSY_
                                        ; -- End function
	.set _ZN7rocprim17ROCPRIM_400000_NS6detail17trampoline_kernelINS0_14default_configENS1_22reduce_config_selectorIN6thrust23THRUST_200600_302600_NS5tupleIbffNS6_9null_typeES8_S8_S8_S8_S8_S8_EEEEZNS1_11reduce_implILb1ES3_NS6_11hip_rocprim26transform_input_iterator_tIS9_NS6_12zip_iteratorINS7_INS6_17counting_iteratorIiNS6_11use_defaultESG_SG_EENS6_6detail15normal_iteratorINS6_10device_ptrIfEEEES8_S8_S8_S8_S8_S8_S8_S8_EEEE15transform_tupleIifEEEPS9_S9_12reduce_tupleIifEEE10hipError_tPvRmT1_T2_T3_mT4_P12ihipStream_tbEUlT_E0_NS1_11comp_targetILNS1_3genE9ELNS1_11target_archE1100ELNS1_3gpuE3ELNS1_3repE0EEENS1_30default_config_static_selectorELNS0_4arch9wavefront6targetE1EEEvSY_.num_vgpr, 0
	.set _ZN7rocprim17ROCPRIM_400000_NS6detail17trampoline_kernelINS0_14default_configENS1_22reduce_config_selectorIN6thrust23THRUST_200600_302600_NS5tupleIbffNS6_9null_typeES8_S8_S8_S8_S8_S8_EEEEZNS1_11reduce_implILb1ES3_NS6_11hip_rocprim26transform_input_iterator_tIS9_NS6_12zip_iteratorINS7_INS6_17counting_iteratorIiNS6_11use_defaultESG_SG_EENS6_6detail15normal_iteratorINS6_10device_ptrIfEEEES8_S8_S8_S8_S8_S8_S8_S8_EEEE15transform_tupleIifEEEPS9_S9_12reduce_tupleIifEEE10hipError_tPvRmT1_T2_T3_mT4_P12ihipStream_tbEUlT_E0_NS1_11comp_targetILNS1_3genE9ELNS1_11target_archE1100ELNS1_3gpuE3ELNS1_3repE0EEENS1_30default_config_static_selectorELNS0_4arch9wavefront6targetE1EEEvSY_.num_agpr, 0
	.set _ZN7rocprim17ROCPRIM_400000_NS6detail17trampoline_kernelINS0_14default_configENS1_22reduce_config_selectorIN6thrust23THRUST_200600_302600_NS5tupleIbffNS6_9null_typeES8_S8_S8_S8_S8_S8_EEEEZNS1_11reduce_implILb1ES3_NS6_11hip_rocprim26transform_input_iterator_tIS9_NS6_12zip_iteratorINS7_INS6_17counting_iteratorIiNS6_11use_defaultESG_SG_EENS6_6detail15normal_iteratorINS6_10device_ptrIfEEEES8_S8_S8_S8_S8_S8_S8_S8_EEEE15transform_tupleIifEEEPS9_S9_12reduce_tupleIifEEE10hipError_tPvRmT1_T2_T3_mT4_P12ihipStream_tbEUlT_E0_NS1_11comp_targetILNS1_3genE9ELNS1_11target_archE1100ELNS1_3gpuE3ELNS1_3repE0EEENS1_30default_config_static_selectorELNS0_4arch9wavefront6targetE1EEEvSY_.numbered_sgpr, 0
	.set _ZN7rocprim17ROCPRIM_400000_NS6detail17trampoline_kernelINS0_14default_configENS1_22reduce_config_selectorIN6thrust23THRUST_200600_302600_NS5tupleIbffNS6_9null_typeES8_S8_S8_S8_S8_S8_EEEEZNS1_11reduce_implILb1ES3_NS6_11hip_rocprim26transform_input_iterator_tIS9_NS6_12zip_iteratorINS7_INS6_17counting_iteratorIiNS6_11use_defaultESG_SG_EENS6_6detail15normal_iteratorINS6_10device_ptrIfEEEES8_S8_S8_S8_S8_S8_S8_S8_EEEE15transform_tupleIifEEEPS9_S9_12reduce_tupleIifEEE10hipError_tPvRmT1_T2_T3_mT4_P12ihipStream_tbEUlT_E0_NS1_11comp_targetILNS1_3genE9ELNS1_11target_archE1100ELNS1_3gpuE3ELNS1_3repE0EEENS1_30default_config_static_selectorELNS0_4arch9wavefront6targetE1EEEvSY_.num_named_barrier, 0
	.set _ZN7rocprim17ROCPRIM_400000_NS6detail17trampoline_kernelINS0_14default_configENS1_22reduce_config_selectorIN6thrust23THRUST_200600_302600_NS5tupleIbffNS6_9null_typeES8_S8_S8_S8_S8_S8_EEEEZNS1_11reduce_implILb1ES3_NS6_11hip_rocprim26transform_input_iterator_tIS9_NS6_12zip_iteratorINS7_INS6_17counting_iteratorIiNS6_11use_defaultESG_SG_EENS6_6detail15normal_iteratorINS6_10device_ptrIfEEEES8_S8_S8_S8_S8_S8_S8_S8_EEEE15transform_tupleIifEEEPS9_S9_12reduce_tupleIifEEE10hipError_tPvRmT1_T2_T3_mT4_P12ihipStream_tbEUlT_E0_NS1_11comp_targetILNS1_3genE9ELNS1_11target_archE1100ELNS1_3gpuE3ELNS1_3repE0EEENS1_30default_config_static_selectorELNS0_4arch9wavefront6targetE1EEEvSY_.private_seg_size, 0
	.set _ZN7rocprim17ROCPRIM_400000_NS6detail17trampoline_kernelINS0_14default_configENS1_22reduce_config_selectorIN6thrust23THRUST_200600_302600_NS5tupleIbffNS6_9null_typeES8_S8_S8_S8_S8_S8_EEEEZNS1_11reduce_implILb1ES3_NS6_11hip_rocprim26transform_input_iterator_tIS9_NS6_12zip_iteratorINS7_INS6_17counting_iteratorIiNS6_11use_defaultESG_SG_EENS6_6detail15normal_iteratorINS6_10device_ptrIfEEEES8_S8_S8_S8_S8_S8_S8_S8_EEEE15transform_tupleIifEEEPS9_S9_12reduce_tupleIifEEE10hipError_tPvRmT1_T2_T3_mT4_P12ihipStream_tbEUlT_E0_NS1_11comp_targetILNS1_3genE9ELNS1_11target_archE1100ELNS1_3gpuE3ELNS1_3repE0EEENS1_30default_config_static_selectorELNS0_4arch9wavefront6targetE1EEEvSY_.uses_vcc, 0
	.set _ZN7rocprim17ROCPRIM_400000_NS6detail17trampoline_kernelINS0_14default_configENS1_22reduce_config_selectorIN6thrust23THRUST_200600_302600_NS5tupleIbffNS6_9null_typeES8_S8_S8_S8_S8_S8_EEEEZNS1_11reduce_implILb1ES3_NS6_11hip_rocprim26transform_input_iterator_tIS9_NS6_12zip_iteratorINS7_INS6_17counting_iteratorIiNS6_11use_defaultESG_SG_EENS6_6detail15normal_iteratorINS6_10device_ptrIfEEEES8_S8_S8_S8_S8_S8_S8_S8_EEEE15transform_tupleIifEEEPS9_S9_12reduce_tupleIifEEE10hipError_tPvRmT1_T2_T3_mT4_P12ihipStream_tbEUlT_E0_NS1_11comp_targetILNS1_3genE9ELNS1_11target_archE1100ELNS1_3gpuE3ELNS1_3repE0EEENS1_30default_config_static_selectorELNS0_4arch9wavefront6targetE1EEEvSY_.uses_flat_scratch, 0
	.set _ZN7rocprim17ROCPRIM_400000_NS6detail17trampoline_kernelINS0_14default_configENS1_22reduce_config_selectorIN6thrust23THRUST_200600_302600_NS5tupleIbffNS6_9null_typeES8_S8_S8_S8_S8_S8_EEEEZNS1_11reduce_implILb1ES3_NS6_11hip_rocprim26transform_input_iterator_tIS9_NS6_12zip_iteratorINS7_INS6_17counting_iteratorIiNS6_11use_defaultESG_SG_EENS6_6detail15normal_iteratorINS6_10device_ptrIfEEEES8_S8_S8_S8_S8_S8_S8_S8_EEEE15transform_tupleIifEEEPS9_S9_12reduce_tupleIifEEE10hipError_tPvRmT1_T2_T3_mT4_P12ihipStream_tbEUlT_E0_NS1_11comp_targetILNS1_3genE9ELNS1_11target_archE1100ELNS1_3gpuE3ELNS1_3repE0EEENS1_30default_config_static_selectorELNS0_4arch9wavefront6targetE1EEEvSY_.has_dyn_sized_stack, 0
	.set _ZN7rocprim17ROCPRIM_400000_NS6detail17trampoline_kernelINS0_14default_configENS1_22reduce_config_selectorIN6thrust23THRUST_200600_302600_NS5tupleIbffNS6_9null_typeES8_S8_S8_S8_S8_S8_EEEEZNS1_11reduce_implILb1ES3_NS6_11hip_rocprim26transform_input_iterator_tIS9_NS6_12zip_iteratorINS7_INS6_17counting_iteratorIiNS6_11use_defaultESG_SG_EENS6_6detail15normal_iteratorINS6_10device_ptrIfEEEES8_S8_S8_S8_S8_S8_S8_S8_EEEE15transform_tupleIifEEEPS9_S9_12reduce_tupleIifEEE10hipError_tPvRmT1_T2_T3_mT4_P12ihipStream_tbEUlT_E0_NS1_11comp_targetILNS1_3genE9ELNS1_11target_archE1100ELNS1_3gpuE3ELNS1_3repE0EEENS1_30default_config_static_selectorELNS0_4arch9wavefront6targetE1EEEvSY_.has_recursion, 0
	.set _ZN7rocprim17ROCPRIM_400000_NS6detail17trampoline_kernelINS0_14default_configENS1_22reduce_config_selectorIN6thrust23THRUST_200600_302600_NS5tupleIbffNS6_9null_typeES8_S8_S8_S8_S8_S8_EEEEZNS1_11reduce_implILb1ES3_NS6_11hip_rocprim26transform_input_iterator_tIS9_NS6_12zip_iteratorINS7_INS6_17counting_iteratorIiNS6_11use_defaultESG_SG_EENS6_6detail15normal_iteratorINS6_10device_ptrIfEEEES8_S8_S8_S8_S8_S8_S8_S8_EEEE15transform_tupleIifEEEPS9_S9_12reduce_tupleIifEEE10hipError_tPvRmT1_T2_T3_mT4_P12ihipStream_tbEUlT_E0_NS1_11comp_targetILNS1_3genE9ELNS1_11target_archE1100ELNS1_3gpuE3ELNS1_3repE0EEENS1_30default_config_static_selectorELNS0_4arch9wavefront6targetE1EEEvSY_.has_indirect_call, 0
	.section	.AMDGPU.csdata,"",@progbits
; Kernel info:
; codeLenInByte = 0
; TotalNumSgprs: 4
; NumVgprs: 0
; ScratchSize: 0
; MemoryBound: 0
; FloatMode: 240
; IeeeMode: 1
; LDSByteSize: 0 bytes/workgroup (compile time only)
; SGPRBlocks: 0
; VGPRBlocks: 0
; NumSGPRsForWavesPerEU: 4
; NumVGPRsForWavesPerEU: 1
; Occupancy: 10
; WaveLimiterHint : 0
; COMPUTE_PGM_RSRC2:SCRATCH_EN: 0
; COMPUTE_PGM_RSRC2:USER_SGPR: 6
; COMPUTE_PGM_RSRC2:TRAP_HANDLER: 0
; COMPUTE_PGM_RSRC2:TGID_X_EN: 1
; COMPUTE_PGM_RSRC2:TGID_Y_EN: 0
; COMPUTE_PGM_RSRC2:TGID_Z_EN: 0
; COMPUTE_PGM_RSRC2:TIDIG_COMP_CNT: 0
	.section	.text._ZN7rocprim17ROCPRIM_400000_NS6detail17trampoline_kernelINS0_14default_configENS1_22reduce_config_selectorIN6thrust23THRUST_200600_302600_NS5tupleIbffNS6_9null_typeES8_S8_S8_S8_S8_S8_EEEEZNS1_11reduce_implILb1ES3_NS6_11hip_rocprim26transform_input_iterator_tIS9_NS6_12zip_iteratorINS7_INS6_17counting_iteratorIiNS6_11use_defaultESG_SG_EENS6_6detail15normal_iteratorINS6_10device_ptrIfEEEES8_S8_S8_S8_S8_S8_S8_S8_EEEE15transform_tupleIifEEEPS9_S9_12reduce_tupleIifEEE10hipError_tPvRmT1_T2_T3_mT4_P12ihipStream_tbEUlT_E0_NS1_11comp_targetILNS1_3genE8ELNS1_11target_archE1030ELNS1_3gpuE2ELNS1_3repE0EEENS1_30default_config_static_selectorELNS0_4arch9wavefront6targetE1EEEvSY_,"axG",@progbits,_ZN7rocprim17ROCPRIM_400000_NS6detail17trampoline_kernelINS0_14default_configENS1_22reduce_config_selectorIN6thrust23THRUST_200600_302600_NS5tupleIbffNS6_9null_typeES8_S8_S8_S8_S8_S8_EEEEZNS1_11reduce_implILb1ES3_NS6_11hip_rocprim26transform_input_iterator_tIS9_NS6_12zip_iteratorINS7_INS6_17counting_iteratorIiNS6_11use_defaultESG_SG_EENS6_6detail15normal_iteratorINS6_10device_ptrIfEEEES8_S8_S8_S8_S8_S8_S8_S8_EEEE15transform_tupleIifEEEPS9_S9_12reduce_tupleIifEEE10hipError_tPvRmT1_T2_T3_mT4_P12ihipStream_tbEUlT_E0_NS1_11comp_targetILNS1_3genE8ELNS1_11target_archE1030ELNS1_3gpuE2ELNS1_3repE0EEENS1_30default_config_static_selectorELNS0_4arch9wavefront6targetE1EEEvSY_,comdat
	.protected	_ZN7rocprim17ROCPRIM_400000_NS6detail17trampoline_kernelINS0_14default_configENS1_22reduce_config_selectorIN6thrust23THRUST_200600_302600_NS5tupleIbffNS6_9null_typeES8_S8_S8_S8_S8_S8_EEEEZNS1_11reduce_implILb1ES3_NS6_11hip_rocprim26transform_input_iterator_tIS9_NS6_12zip_iteratorINS7_INS6_17counting_iteratorIiNS6_11use_defaultESG_SG_EENS6_6detail15normal_iteratorINS6_10device_ptrIfEEEES8_S8_S8_S8_S8_S8_S8_S8_EEEE15transform_tupleIifEEEPS9_S9_12reduce_tupleIifEEE10hipError_tPvRmT1_T2_T3_mT4_P12ihipStream_tbEUlT_E0_NS1_11comp_targetILNS1_3genE8ELNS1_11target_archE1030ELNS1_3gpuE2ELNS1_3repE0EEENS1_30default_config_static_selectorELNS0_4arch9wavefront6targetE1EEEvSY_ ; -- Begin function _ZN7rocprim17ROCPRIM_400000_NS6detail17trampoline_kernelINS0_14default_configENS1_22reduce_config_selectorIN6thrust23THRUST_200600_302600_NS5tupleIbffNS6_9null_typeES8_S8_S8_S8_S8_S8_EEEEZNS1_11reduce_implILb1ES3_NS6_11hip_rocprim26transform_input_iterator_tIS9_NS6_12zip_iteratorINS7_INS6_17counting_iteratorIiNS6_11use_defaultESG_SG_EENS6_6detail15normal_iteratorINS6_10device_ptrIfEEEES8_S8_S8_S8_S8_S8_S8_S8_EEEE15transform_tupleIifEEEPS9_S9_12reduce_tupleIifEEE10hipError_tPvRmT1_T2_T3_mT4_P12ihipStream_tbEUlT_E0_NS1_11comp_targetILNS1_3genE8ELNS1_11target_archE1030ELNS1_3gpuE2ELNS1_3repE0EEENS1_30default_config_static_selectorELNS0_4arch9wavefront6targetE1EEEvSY_
	.globl	_ZN7rocprim17ROCPRIM_400000_NS6detail17trampoline_kernelINS0_14default_configENS1_22reduce_config_selectorIN6thrust23THRUST_200600_302600_NS5tupleIbffNS6_9null_typeES8_S8_S8_S8_S8_S8_EEEEZNS1_11reduce_implILb1ES3_NS6_11hip_rocprim26transform_input_iterator_tIS9_NS6_12zip_iteratorINS7_INS6_17counting_iteratorIiNS6_11use_defaultESG_SG_EENS6_6detail15normal_iteratorINS6_10device_ptrIfEEEES8_S8_S8_S8_S8_S8_S8_S8_EEEE15transform_tupleIifEEEPS9_S9_12reduce_tupleIifEEE10hipError_tPvRmT1_T2_T3_mT4_P12ihipStream_tbEUlT_E0_NS1_11comp_targetILNS1_3genE8ELNS1_11target_archE1030ELNS1_3gpuE2ELNS1_3repE0EEENS1_30default_config_static_selectorELNS0_4arch9wavefront6targetE1EEEvSY_
	.p2align	8
	.type	_ZN7rocprim17ROCPRIM_400000_NS6detail17trampoline_kernelINS0_14default_configENS1_22reduce_config_selectorIN6thrust23THRUST_200600_302600_NS5tupleIbffNS6_9null_typeES8_S8_S8_S8_S8_S8_EEEEZNS1_11reduce_implILb1ES3_NS6_11hip_rocprim26transform_input_iterator_tIS9_NS6_12zip_iteratorINS7_INS6_17counting_iteratorIiNS6_11use_defaultESG_SG_EENS6_6detail15normal_iteratorINS6_10device_ptrIfEEEES8_S8_S8_S8_S8_S8_S8_S8_EEEE15transform_tupleIifEEEPS9_S9_12reduce_tupleIifEEE10hipError_tPvRmT1_T2_T3_mT4_P12ihipStream_tbEUlT_E0_NS1_11comp_targetILNS1_3genE8ELNS1_11target_archE1030ELNS1_3gpuE2ELNS1_3repE0EEENS1_30default_config_static_selectorELNS0_4arch9wavefront6targetE1EEEvSY_,@function
_ZN7rocprim17ROCPRIM_400000_NS6detail17trampoline_kernelINS0_14default_configENS1_22reduce_config_selectorIN6thrust23THRUST_200600_302600_NS5tupleIbffNS6_9null_typeES8_S8_S8_S8_S8_S8_EEEEZNS1_11reduce_implILb1ES3_NS6_11hip_rocprim26transform_input_iterator_tIS9_NS6_12zip_iteratorINS7_INS6_17counting_iteratorIiNS6_11use_defaultESG_SG_EENS6_6detail15normal_iteratorINS6_10device_ptrIfEEEES8_S8_S8_S8_S8_S8_S8_S8_EEEE15transform_tupleIifEEEPS9_S9_12reduce_tupleIifEEE10hipError_tPvRmT1_T2_T3_mT4_P12ihipStream_tbEUlT_E0_NS1_11comp_targetILNS1_3genE8ELNS1_11target_archE1030ELNS1_3gpuE2ELNS1_3repE0EEENS1_30default_config_static_selectorELNS0_4arch9wavefront6targetE1EEEvSY_: ; @_ZN7rocprim17ROCPRIM_400000_NS6detail17trampoline_kernelINS0_14default_configENS1_22reduce_config_selectorIN6thrust23THRUST_200600_302600_NS5tupleIbffNS6_9null_typeES8_S8_S8_S8_S8_S8_EEEEZNS1_11reduce_implILb1ES3_NS6_11hip_rocprim26transform_input_iterator_tIS9_NS6_12zip_iteratorINS7_INS6_17counting_iteratorIiNS6_11use_defaultESG_SG_EENS6_6detail15normal_iteratorINS6_10device_ptrIfEEEES8_S8_S8_S8_S8_S8_S8_S8_EEEE15transform_tupleIifEEEPS9_S9_12reduce_tupleIifEEE10hipError_tPvRmT1_T2_T3_mT4_P12ihipStream_tbEUlT_E0_NS1_11comp_targetILNS1_3genE8ELNS1_11target_archE1030ELNS1_3gpuE2ELNS1_3repE0EEENS1_30default_config_static_selectorELNS0_4arch9wavefront6targetE1EEEvSY_
; %bb.0:
	.section	.rodata,"a",@progbits
	.p2align	6, 0x0
	.amdhsa_kernel _ZN7rocprim17ROCPRIM_400000_NS6detail17trampoline_kernelINS0_14default_configENS1_22reduce_config_selectorIN6thrust23THRUST_200600_302600_NS5tupleIbffNS6_9null_typeES8_S8_S8_S8_S8_S8_EEEEZNS1_11reduce_implILb1ES3_NS6_11hip_rocprim26transform_input_iterator_tIS9_NS6_12zip_iteratorINS7_INS6_17counting_iteratorIiNS6_11use_defaultESG_SG_EENS6_6detail15normal_iteratorINS6_10device_ptrIfEEEES8_S8_S8_S8_S8_S8_S8_S8_EEEE15transform_tupleIifEEEPS9_S9_12reduce_tupleIifEEE10hipError_tPvRmT1_T2_T3_mT4_P12ihipStream_tbEUlT_E0_NS1_11comp_targetILNS1_3genE8ELNS1_11target_archE1030ELNS1_3gpuE2ELNS1_3repE0EEENS1_30default_config_static_selectorELNS0_4arch9wavefront6targetE1EEEvSY_
		.amdhsa_group_segment_fixed_size 0
		.amdhsa_private_segment_fixed_size 0
		.amdhsa_kernarg_size 80
		.amdhsa_user_sgpr_count 6
		.amdhsa_user_sgpr_private_segment_buffer 1
		.amdhsa_user_sgpr_dispatch_ptr 0
		.amdhsa_user_sgpr_queue_ptr 0
		.amdhsa_user_sgpr_kernarg_segment_ptr 1
		.amdhsa_user_sgpr_dispatch_id 0
		.amdhsa_user_sgpr_flat_scratch_init 0
		.amdhsa_user_sgpr_private_segment_size 0
		.amdhsa_uses_dynamic_stack 0
		.amdhsa_system_sgpr_private_segment_wavefront_offset 0
		.amdhsa_system_sgpr_workgroup_id_x 1
		.amdhsa_system_sgpr_workgroup_id_y 0
		.amdhsa_system_sgpr_workgroup_id_z 0
		.amdhsa_system_sgpr_workgroup_info 0
		.amdhsa_system_vgpr_workitem_id 0
		.amdhsa_next_free_vgpr 1
		.amdhsa_next_free_sgpr 0
		.amdhsa_reserve_vcc 0
		.amdhsa_reserve_flat_scratch 0
		.amdhsa_float_round_mode_32 0
		.amdhsa_float_round_mode_16_64 0
		.amdhsa_float_denorm_mode_32 3
		.amdhsa_float_denorm_mode_16_64 3
		.amdhsa_dx10_clamp 1
		.amdhsa_ieee_mode 1
		.amdhsa_fp16_overflow 0
		.amdhsa_exception_fp_ieee_invalid_op 0
		.amdhsa_exception_fp_denorm_src 0
		.amdhsa_exception_fp_ieee_div_zero 0
		.amdhsa_exception_fp_ieee_overflow 0
		.amdhsa_exception_fp_ieee_underflow 0
		.amdhsa_exception_fp_ieee_inexact 0
		.amdhsa_exception_int_div_zero 0
	.end_amdhsa_kernel
	.section	.text._ZN7rocprim17ROCPRIM_400000_NS6detail17trampoline_kernelINS0_14default_configENS1_22reduce_config_selectorIN6thrust23THRUST_200600_302600_NS5tupleIbffNS6_9null_typeES8_S8_S8_S8_S8_S8_EEEEZNS1_11reduce_implILb1ES3_NS6_11hip_rocprim26transform_input_iterator_tIS9_NS6_12zip_iteratorINS7_INS6_17counting_iteratorIiNS6_11use_defaultESG_SG_EENS6_6detail15normal_iteratorINS6_10device_ptrIfEEEES8_S8_S8_S8_S8_S8_S8_S8_EEEE15transform_tupleIifEEEPS9_S9_12reduce_tupleIifEEE10hipError_tPvRmT1_T2_T3_mT4_P12ihipStream_tbEUlT_E0_NS1_11comp_targetILNS1_3genE8ELNS1_11target_archE1030ELNS1_3gpuE2ELNS1_3repE0EEENS1_30default_config_static_selectorELNS0_4arch9wavefront6targetE1EEEvSY_,"axG",@progbits,_ZN7rocprim17ROCPRIM_400000_NS6detail17trampoline_kernelINS0_14default_configENS1_22reduce_config_selectorIN6thrust23THRUST_200600_302600_NS5tupleIbffNS6_9null_typeES8_S8_S8_S8_S8_S8_EEEEZNS1_11reduce_implILb1ES3_NS6_11hip_rocprim26transform_input_iterator_tIS9_NS6_12zip_iteratorINS7_INS6_17counting_iteratorIiNS6_11use_defaultESG_SG_EENS6_6detail15normal_iteratorINS6_10device_ptrIfEEEES8_S8_S8_S8_S8_S8_S8_S8_EEEE15transform_tupleIifEEEPS9_S9_12reduce_tupleIifEEE10hipError_tPvRmT1_T2_T3_mT4_P12ihipStream_tbEUlT_E0_NS1_11comp_targetILNS1_3genE8ELNS1_11target_archE1030ELNS1_3gpuE2ELNS1_3repE0EEENS1_30default_config_static_selectorELNS0_4arch9wavefront6targetE1EEEvSY_,comdat
.Lfunc_end27:
	.size	_ZN7rocprim17ROCPRIM_400000_NS6detail17trampoline_kernelINS0_14default_configENS1_22reduce_config_selectorIN6thrust23THRUST_200600_302600_NS5tupleIbffNS6_9null_typeES8_S8_S8_S8_S8_S8_EEEEZNS1_11reduce_implILb1ES3_NS6_11hip_rocprim26transform_input_iterator_tIS9_NS6_12zip_iteratorINS7_INS6_17counting_iteratorIiNS6_11use_defaultESG_SG_EENS6_6detail15normal_iteratorINS6_10device_ptrIfEEEES8_S8_S8_S8_S8_S8_S8_S8_EEEE15transform_tupleIifEEEPS9_S9_12reduce_tupleIifEEE10hipError_tPvRmT1_T2_T3_mT4_P12ihipStream_tbEUlT_E0_NS1_11comp_targetILNS1_3genE8ELNS1_11target_archE1030ELNS1_3gpuE2ELNS1_3repE0EEENS1_30default_config_static_selectorELNS0_4arch9wavefront6targetE1EEEvSY_, .Lfunc_end27-_ZN7rocprim17ROCPRIM_400000_NS6detail17trampoline_kernelINS0_14default_configENS1_22reduce_config_selectorIN6thrust23THRUST_200600_302600_NS5tupleIbffNS6_9null_typeES8_S8_S8_S8_S8_S8_EEEEZNS1_11reduce_implILb1ES3_NS6_11hip_rocprim26transform_input_iterator_tIS9_NS6_12zip_iteratorINS7_INS6_17counting_iteratorIiNS6_11use_defaultESG_SG_EENS6_6detail15normal_iteratorINS6_10device_ptrIfEEEES8_S8_S8_S8_S8_S8_S8_S8_EEEE15transform_tupleIifEEEPS9_S9_12reduce_tupleIifEEE10hipError_tPvRmT1_T2_T3_mT4_P12ihipStream_tbEUlT_E0_NS1_11comp_targetILNS1_3genE8ELNS1_11target_archE1030ELNS1_3gpuE2ELNS1_3repE0EEENS1_30default_config_static_selectorELNS0_4arch9wavefront6targetE1EEEvSY_
                                        ; -- End function
	.set _ZN7rocprim17ROCPRIM_400000_NS6detail17trampoline_kernelINS0_14default_configENS1_22reduce_config_selectorIN6thrust23THRUST_200600_302600_NS5tupleIbffNS6_9null_typeES8_S8_S8_S8_S8_S8_EEEEZNS1_11reduce_implILb1ES3_NS6_11hip_rocprim26transform_input_iterator_tIS9_NS6_12zip_iteratorINS7_INS6_17counting_iteratorIiNS6_11use_defaultESG_SG_EENS6_6detail15normal_iteratorINS6_10device_ptrIfEEEES8_S8_S8_S8_S8_S8_S8_S8_EEEE15transform_tupleIifEEEPS9_S9_12reduce_tupleIifEEE10hipError_tPvRmT1_T2_T3_mT4_P12ihipStream_tbEUlT_E0_NS1_11comp_targetILNS1_3genE8ELNS1_11target_archE1030ELNS1_3gpuE2ELNS1_3repE0EEENS1_30default_config_static_selectorELNS0_4arch9wavefront6targetE1EEEvSY_.num_vgpr, 0
	.set _ZN7rocprim17ROCPRIM_400000_NS6detail17trampoline_kernelINS0_14default_configENS1_22reduce_config_selectorIN6thrust23THRUST_200600_302600_NS5tupleIbffNS6_9null_typeES8_S8_S8_S8_S8_S8_EEEEZNS1_11reduce_implILb1ES3_NS6_11hip_rocprim26transform_input_iterator_tIS9_NS6_12zip_iteratorINS7_INS6_17counting_iteratorIiNS6_11use_defaultESG_SG_EENS6_6detail15normal_iteratorINS6_10device_ptrIfEEEES8_S8_S8_S8_S8_S8_S8_S8_EEEE15transform_tupleIifEEEPS9_S9_12reduce_tupleIifEEE10hipError_tPvRmT1_T2_T3_mT4_P12ihipStream_tbEUlT_E0_NS1_11comp_targetILNS1_3genE8ELNS1_11target_archE1030ELNS1_3gpuE2ELNS1_3repE0EEENS1_30default_config_static_selectorELNS0_4arch9wavefront6targetE1EEEvSY_.num_agpr, 0
	.set _ZN7rocprim17ROCPRIM_400000_NS6detail17trampoline_kernelINS0_14default_configENS1_22reduce_config_selectorIN6thrust23THRUST_200600_302600_NS5tupleIbffNS6_9null_typeES8_S8_S8_S8_S8_S8_EEEEZNS1_11reduce_implILb1ES3_NS6_11hip_rocprim26transform_input_iterator_tIS9_NS6_12zip_iteratorINS7_INS6_17counting_iteratorIiNS6_11use_defaultESG_SG_EENS6_6detail15normal_iteratorINS6_10device_ptrIfEEEES8_S8_S8_S8_S8_S8_S8_S8_EEEE15transform_tupleIifEEEPS9_S9_12reduce_tupleIifEEE10hipError_tPvRmT1_T2_T3_mT4_P12ihipStream_tbEUlT_E0_NS1_11comp_targetILNS1_3genE8ELNS1_11target_archE1030ELNS1_3gpuE2ELNS1_3repE0EEENS1_30default_config_static_selectorELNS0_4arch9wavefront6targetE1EEEvSY_.numbered_sgpr, 0
	.set _ZN7rocprim17ROCPRIM_400000_NS6detail17trampoline_kernelINS0_14default_configENS1_22reduce_config_selectorIN6thrust23THRUST_200600_302600_NS5tupleIbffNS6_9null_typeES8_S8_S8_S8_S8_S8_EEEEZNS1_11reduce_implILb1ES3_NS6_11hip_rocprim26transform_input_iterator_tIS9_NS6_12zip_iteratorINS7_INS6_17counting_iteratorIiNS6_11use_defaultESG_SG_EENS6_6detail15normal_iteratorINS6_10device_ptrIfEEEES8_S8_S8_S8_S8_S8_S8_S8_EEEE15transform_tupleIifEEEPS9_S9_12reduce_tupleIifEEE10hipError_tPvRmT1_T2_T3_mT4_P12ihipStream_tbEUlT_E0_NS1_11comp_targetILNS1_3genE8ELNS1_11target_archE1030ELNS1_3gpuE2ELNS1_3repE0EEENS1_30default_config_static_selectorELNS0_4arch9wavefront6targetE1EEEvSY_.num_named_barrier, 0
	.set _ZN7rocprim17ROCPRIM_400000_NS6detail17trampoline_kernelINS0_14default_configENS1_22reduce_config_selectorIN6thrust23THRUST_200600_302600_NS5tupleIbffNS6_9null_typeES8_S8_S8_S8_S8_S8_EEEEZNS1_11reduce_implILb1ES3_NS6_11hip_rocprim26transform_input_iterator_tIS9_NS6_12zip_iteratorINS7_INS6_17counting_iteratorIiNS6_11use_defaultESG_SG_EENS6_6detail15normal_iteratorINS6_10device_ptrIfEEEES8_S8_S8_S8_S8_S8_S8_S8_EEEE15transform_tupleIifEEEPS9_S9_12reduce_tupleIifEEE10hipError_tPvRmT1_T2_T3_mT4_P12ihipStream_tbEUlT_E0_NS1_11comp_targetILNS1_3genE8ELNS1_11target_archE1030ELNS1_3gpuE2ELNS1_3repE0EEENS1_30default_config_static_selectorELNS0_4arch9wavefront6targetE1EEEvSY_.private_seg_size, 0
	.set _ZN7rocprim17ROCPRIM_400000_NS6detail17trampoline_kernelINS0_14default_configENS1_22reduce_config_selectorIN6thrust23THRUST_200600_302600_NS5tupleIbffNS6_9null_typeES8_S8_S8_S8_S8_S8_EEEEZNS1_11reduce_implILb1ES3_NS6_11hip_rocprim26transform_input_iterator_tIS9_NS6_12zip_iteratorINS7_INS6_17counting_iteratorIiNS6_11use_defaultESG_SG_EENS6_6detail15normal_iteratorINS6_10device_ptrIfEEEES8_S8_S8_S8_S8_S8_S8_S8_EEEE15transform_tupleIifEEEPS9_S9_12reduce_tupleIifEEE10hipError_tPvRmT1_T2_T3_mT4_P12ihipStream_tbEUlT_E0_NS1_11comp_targetILNS1_3genE8ELNS1_11target_archE1030ELNS1_3gpuE2ELNS1_3repE0EEENS1_30default_config_static_selectorELNS0_4arch9wavefront6targetE1EEEvSY_.uses_vcc, 0
	.set _ZN7rocprim17ROCPRIM_400000_NS6detail17trampoline_kernelINS0_14default_configENS1_22reduce_config_selectorIN6thrust23THRUST_200600_302600_NS5tupleIbffNS6_9null_typeES8_S8_S8_S8_S8_S8_EEEEZNS1_11reduce_implILb1ES3_NS6_11hip_rocprim26transform_input_iterator_tIS9_NS6_12zip_iteratorINS7_INS6_17counting_iteratorIiNS6_11use_defaultESG_SG_EENS6_6detail15normal_iteratorINS6_10device_ptrIfEEEES8_S8_S8_S8_S8_S8_S8_S8_EEEE15transform_tupleIifEEEPS9_S9_12reduce_tupleIifEEE10hipError_tPvRmT1_T2_T3_mT4_P12ihipStream_tbEUlT_E0_NS1_11comp_targetILNS1_3genE8ELNS1_11target_archE1030ELNS1_3gpuE2ELNS1_3repE0EEENS1_30default_config_static_selectorELNS0_4arch9wavefront6targetE1EEEvSY_.uses_flat_scratch, 0
	.set _ZN7rocprim17ROCPRIM_400000_NS6detail17trampoline_kernelINS0_14default_configENS1_22reduce_config_selectorIN6thrust23THRUST_200600_302600_NS5tupleIbffNS6_9null_typeES8_S8_S8_S8_S8_S8_EEEEZNS1_11reduce_implILb1ES3_NS6_11hip_rocprim26transform_input_iterator_tIS9_NS6_12zip_iteratorINS7_INS6_17counting_iteratorIiNS6_11use_defaultESG_SG_EENS6_6detail15normal_iteratorINS6_10device_ptrIfEEEES8_S8_S8_S8_S8_S8_S8_S8_EEEE15transform_tupleIifEEEPS9_S9_12reduce_tupleIifEEE10hipError_tPvRmT1_T2_T3_mT4_P12ihipStream_tbEUlT_E0_NS1_11comp_targetILNS1_3genE8ELNS1_11target_archE1030ELNS1_3gpuE2ELNS1_3repE0EEENS1_30default_config_static_selectorELNS0_4arch9wavefront6targetE1EEEvSY_.has_dyn_sized_stack, 0
	.set _ZN7rocprim17ROCPRIM_400000_NS6detail17trampoline_kernelINS0_14default_configENS1_22reduce_config_selectorIN6thrust23THRUST_200600_302600_NS5tupleIbffNS6_9null_typeES8_S8_S8_S8_S8_S8_EEEEZNS1_11reduce_implILb1ES3_NS6_11hip_rocprim26transform_input_iterator_tIS9_NS6_12zip_iteratorINS7_INS6_17counting_iteratorIiNS6_11use_defaultESG_SG_EENS6_6detail15normal_iteratorINS6_10device_ptrIfEEEES8_S8_S8_S8_S8_S8_S8_S8_EEEE15transform_tupleIifEEEPS9_S9_12reduce_tupleIifEEE10hipError_tPvRmT1_T2_T3_mT4_P12ihipStream_tbEUlT_E0_NS1_11comp_targetILNS1_3genE8ELNS1_11target_archE1030ELNS1_3gpuE2ELNS1_3repE0EEENS1_30default_config_static_selectorELNS0_4arch9wavefront6targetE1EEEvSY_.has_recursion, 0
	.set _ZN7rocprim17ROCPRIM_400000_NS6detail17trampoline_kernelINS0_14default_configENS1_22reduce_config_selectorIN6thrust23THRUST_200600_302600_NS5tupleIbffNS6_9null_typeES8_S8_S8_S8_S8_S8_EEEEZNS1_11reduce_implILb1ES3_NS6_11hip_rocprim26transform_input_iterator_tIS9_NS6_12zip_iteratorINS7_INS6_17counting_iteratorIiNS6_11use_defaultESG_SG_EENS6_6detail15normal_iteratorINS6_10device_ptrIfEEEES8_S8_S8_S8_S8_S8_S8_S8_EEEE15transform_tupleIifEEEPS9_S9_12reduce_tupleIifEEE10hipError_tPvRmT1_T2_T3_mT4_P12ihipStream_tbEUlT_E0_NS1_11comp_targetILNS1_3genE8ELNS1_11target_archE1030ELNS1_3gpuE2ELNS1_3repE0EEENS1_30default_config_static_selectorELNS0_4arch9wavefront6targetE1EEEvSY_.has_indirect_call, 0
	.section	.AMDGPU.csdata,"",@progbits
; Kernel info:
; codeLenInByte = 0
; TotalNumSgprs: 4
; NumVgprs: 0
; ScratchSize: 0
; MemoryBound: 0
; FloatMode: 240
; IeeeMode: 1
; LDSByteSize: 0 bytes/workgroup (compile time only)
; SGPRBlocks: 0
; VGPRBlocks: 0
; NumSGPRsForWavesPerEU: 4
; NumVGPRsForWavesPerEU: 1
; Occupancy: 10
; WaveLimiterHint : 0
; COMPUTE_PGM_RSRC2:SCRATCH_EN: 0
; COMPUTE_PGM_RSRC2:USER_SGPR: 6
; COMPUTE_PGM_RSRC2:TRAP_HANDLER: 0
; COMPUTE_PGM_RSRC2:TGID_X_EN: 1
; COMPUTE_PGM_RSRC2:TGID_Y_EN: 0
; COMPUTE_PGM_RSRC2:TGID_Z_EN: 0
; COMPUTE_PGM_RSRC2:TIDIG_COMP_CNT: 0
	.section	.text._ZN7rocprim17ROCPRIM_400000_NS6detail17trampoline_kernelINS0_14default_configENS1_22reduce_config_selectorIN6thrust23THRUST_200600_302600_NS5tupleIbffNS6_9null_typeES8_S8_S8_S8_S8_S8_EEEEZNS1_11reduce_implILb1ES3_NS6_11hip_rocprim26transform_input_iterator_tIS9_NS6_12zip_iteratorINS7_INS6_17counting_iteratorIiNS6_11use_defaultESG_SG_EENS6_6detail15normal_iteratorINS6_10device_ptrIfEEEES8_S8_S8_S8_S8_S8_S8_S8_EEEE15transform_tupleIifEEEPS9_S9_12reduce_tupleIifEEE10hipError_tPvRmT1_T2_T3_mT4_P12ihipStream_tbEUlT_E1_NS1_11comp_targetILNS1_3genE0ELNS1_11target_archE4294967295ELNS1_3gpuE0ELNS1_3repE0EEENS1_30default_config_static_selectorELNS0_4arch9wavefront6targetE1EEEvSY_,"axG",@progbits,_ZN7rocprim17ROCPRIM_400000_NS6detail17trampoline_kernelINS0_14default_configENS1_22reduce_config_selectorIN6thrust23THRUST_200600_302600_NS5tupleIbffNS6_9null_typeES8_S8_S8_S8_S8_S8_EEEEZNS1_11reduce_implILb1ES3_NS6_11hip_rocprim26transform_input_iterator_tIS9_NS6_12zip_iteratorINS7_INS6_17counting_iteratorIiNS6_11use_defaultESG_SG_EENS6_6detail15normal_iteratorINS6_10device_ptrIfEEEES8_S8_S8_S8_S8_S8_S8_S8_EEEE15transform_tupleIifEEEPS9_S9_12reduce_tupleIifEEE10hipError_tPvRmT1_T2_T3_mT4_P12ihipStream_tbEUlT_E1_NS1_11comp_targetILNS1_3genE0ELNS1_11target_archE4294967295ELNS1_3gpuE0ELNS1_3repE0EEENS1_30default_config_static_selectorELNS0_4arch9wavefront6targetE1EEEvSY_,comdat
	.protected	_ZN7rocprim17ROCPRIM_400000_NS6detail17trampoline_kernelINS0_14default_configENS1_22reduce_config_selectorIN6thrust23THRUST_200600_302600_NS5tupleIbffNS6_9null_typeES8_S8_S8_S8_S8_S8_EEEEZNS1_11reduce_implILb1ES3_NS6_11hip_rocprim26transform_input_iterator_tIS9_NS6_12zip_iteratorINS7_INS6_17counting_iteratorIiNS6_11use_defaultESG_SG_EENS6_6detail15normal_iteratorINS6_10device_ptrIfEEEES8_S8_S8_S8_S8_S8_S8_S8_EEEE15transform_tupleIifEEEPS9_S9_12reduce_tupleIifEEE10hipError_tPvRmT1_T2_T3_mT4_P12ihipStream_tbEUlT_E1_NS1_11comp_targetILNS1_3genE0ELNS1_11target_archE4294967295ELNS1_3gpuE0ELNS1_3repE0EEENS1_30default_config_static_selectorELNS0_4arch9wavefront6targetE1EEEvSY_ ; -- Begin function _ZN7rocprim17ROCPRIM_400000_NS6detail17trampoline_kernelINS0_14default_configENS1_22reduce_config_selectorIN6thrust23THRUST_200600_302600_NS5tupleIbffNS6_9null_typeES8_S8_S8_S8_S8_S8_EEEEZNS1_11reduce_implILb1ES3_NS6_11hip_rocprim26transform_input_iterator_tIS9_NS6_12zip_iteratorINS7_INS6_17counting_iteratorIiNS6_11use_defaultESG_SG_EENS6_6detail15normal_iteratorINS6_10device_ptrIfEEEES8_S8_S8_S8_S8_S8_S8_S8_EEEE15transform_tupleIifEEEPS9_S9_12reduce_tupleIifEEE10hipError_tPvRmT1_T2_T3_mT4_P12ihipStream_tbEUlT_E1_NS1_11comp_targetILNS1_3genE0ELNS1_11target_archE4294967295ELNS1_3gpuE0ELNS1_3repE0EEENS1_30default_config_static_selectorELNS0_4arch9wavefront6targetE1EEEvSY_
	.globl	_ZN7rocprim17ROCPRIM_400000_NS6detail17trampoline_kernelINS0_14default_configENS1_22reduce_config_selectorIN6thrust23THRUST_200600_302600_NS5tupleIbffNS6_9null_typeES8_S8_S8_S8_S8_S8_EEEEZNS1_11reduce_implILb1ES3_NS6_11hip_rocprim26transform_input_iterator_tIS9_NS6_12zip_iteratorINS7_INS6_17counting_iteratorIiNS6_11use_defaultESG_SG_EENS6_6detail15normal_iteratorINS6_10device_ptrIfEEEES8_S8_S8_S8_S8_S8_S8_S8_EEEE15transform_tupleIifEEEPS9_S9_12reduce_tupleIifEEE10hipError_tPvRmT1_T2_T3_mT4_P12ihipStream_tbEUlT_E1_NS1_11comp_targetILNS1_3genE0ELNS1_11target_archE4294967295ELNS1_3gpuE0ELNS1_3repE0EEENS1_30default_config_static_selectorELNS0_4arch9wavefront6targetE1EEEvSY_
	.p2align	8
	.type	_ZN7rocprim17ROCPRIM_400000_NS6detail17trampoline_kernelINS0_14default_configENS1_22reduce_config_selectorIN6thrust23THRUST_200600_302600_NS5tupleIbffNS6_9null_typeES8_S8_S8_S8_S8_S8_EEEEZNS1_11reduce_implILb1ES3_NS6_11hip_rocprim26transform_input_iterator_tIS9_NS6_12zip_iteratorINS7_INS6_17counting_iteratorIiNS6_11use_defaultESG_SG_EENS6_6detail15normal_iteratorINS6_10device_ptrIfEEEES8_S8_S8_S8_S8_S8_S8_S8_EEEE15transform_tupleIifEEEPS9_S9_12reduce_tupleIifEEE10hipError_tPvRmT1_T2_T3_mT4_P12ihipStream_tbEUlT_E1_NS1_11comp_targetILNS1_3genE0ELNS1_11target_archE4294967295ELNS1_3gpuE0ELNS1_3repE0EEENS1_30default_config_static_selectorELNS0_4arch9wavefront6targetE1EEEvSY_,@function
_ZN7rocprim17ROCPRIM_400000_NS6detail17trampoline_kernelINS0_14default_configENS1_22reduce_config_selectorIN6thrust23THRUST_200600_302600_NS5tupleIbffNS6_9null_typeES8_S8_S8_S8_S8_S8_EEEEZNS1_11reduce_implILb1ES3_NS6_11hip_rocprim26transform_input_iterator_tIS9_NS6_12zip_iteratorINS7_INS6_17counting_iteratorIiNS6_11use_defaultESG_SG_EENS6_6detail15normal_iteratorINS6_10device_ptrIfEEEES8_S8_S8_S8_S8_S8_S8_S8_EEEE15transform_tupleIifEEEPS9_S9_12reduce_tupleIifEEE10hipError_tPvRmT1_T2_T3_mT4_P12ihipStream_tbEUlT_E1_NS1_11comp_targetILNS1_3genE0ELNS1_11target_archE4294967295ELNS1_3gpuE0ELNS1_3repE0EEENS1_30default_config_static_selectorELNS0_4arch9wavefront6targetE1EEEvSY_: ; @_ZN7rocprim17ROCPRIM_400000_NS6detail17trampoline_kernelINS0_14default_configENS1_22reduce_config_selectorIN6thrust23THRUST_200600_302600_NS5tupleIbffNS6_9null_typeES8_S8_S8_S8_S8_S8_EEEEZNS1_11reduce_implILb1ES3_NS6_11hip_rocprim26transform_input_iterator_tIS9_NS6_12zip_iteratorINS7_INS6_17counting_iteratorIiNS6_11use_defaultESG_SG_EENS6_6detail15normal_iteratorINS6_10device_ptrIfEEEES8_S8_S8_S8_S8_S8_S8_S8_EEEE15transform_tupleIifEEEPS9_S9_12reduce_tupleIifEEE10hipError_tPvRmT1_T2_T3_mT4_P12ihipStream_tbEUlT_E1_NS1_11comp_targetILNS1_3genE0ELNS1_11target_archE4294967295ELNS1_3gpuE0ELNS1_3repE0EEENS1_30default_config_static_selectorELNS0_4arch9wavefront6targetE1EEEvSY_
; %bb.0:
	.section	.rodata,"a",@progbits
	.p2align	6, 0x0
	.amdhsa_kernel _ZN7rocprim17ROCPRIM_400000_NS6detail17trampoline_kernelINS0_14default_configENS1_22reduce_config_selectorIN6thrust23THRUST_200600_302600_NS5tupleIbffNS6_9null_typeES8_S8_S8_S8_S8_S8_EEEEZNS1_11reduce_implILb1ES3_NS6_11hip_rocprim26transform_input_iterator_tIS9_NS6_12zip_iteratorINS7_INS6_17counting_iteratorIiNS6_11use_defaultESG_SG_EENS6_6detail15normal_iteratorINS6_10device_ptrIfEEEES8_S8_S8_S8_S8_S8_S8_S8_EEEE15transform_tupleIifEEEPS9_S9_12reduce_tupleIifEEE10hipError_tPvRmT1_T2_T3_mT4_P12ihipStream_tbEUlT_E1_NS1_11comp_targetILNS1_3genE0ELNS1_11target_archE4294967295ELNS1_3gpuE0ELNS1_3repE0EEENS1_30default_config_static_selectorELNS0_4arch9wavefront6targetE1EEEvSY_
		.amdhsa_group_segment_fixed_size 0
		.amdhsa_private_segment_fixed_size 0
		.amdhsa_kernarg_size 64
		.amdhsa_user_sgpr_count 6
		.amdhsa_user_sgpr_private_segment_buffer 1
		.amdhsa_user_sgpr_dispatch_ptr 0
		.amdhsa_user_sgpr_queue_ptr 0
		.amdhsa_user_sgpr_kernarg_segment_ptr 1
		.amdhsa_user_sgpr_dispatch_id 0
		.amdhsa_user_sgpr_flat_scratch_init 0
		.amdhsa_user_sgpr_private_segment_size 0
		.amdhsa_uses_dynamic_stack 0
		.amdhsa_system_sgpr_private_segment_wavefront_offset 0
		.amdhsa_system_sgpr_workgroup_id_x 1
		.amdhsa_system_sgpr_workgroup_id_y 0
		.amdhsa_system_sgpr_workgroup_id_z 0
		.amdhsa_system_sgpr_workgroup_info 0
		.amdhsa_system_vgpr_workitem_id 0
		.amdhsa_next_free_vgpr 1
		.amdhsa_next_free_sgpr 0
		.amdhsa_reserve_vcc 0
		.amdhsa_reserve_flat_scratch 0
		.amdhsa_float_round_mode_32 0
		.amdhsa_float_round_mode_16_64 0
		.amdhsa_float_denorm_mode_32 3
		.amdhsa_float_denorm_mode_16_64 3
		.amdhsa_dx10_clamp 1
		.amdhsa_ieee_mode 1
		.amdhsa_fp16_overflow 0
		.amdhsa_exception_fp_ieee_invalid_op 0
		.amdhsa_exception_fp_denorm_src 0
		.amdhsa_exception_fp_ieee_div_zero 0
		.amdhsa_exception_fp_ieee_overflow 0
		.amdhsa_exception_fp_ieee_underflow 0
		.amdhsa_exception_fp_ieee_inexact 0
		.amdhsa_exception_int_div_zero 0
	.end_amdhsa_kernel
	.section	.text._ZN7rocprim17ROCPRIM_400000_NS6detail17trampoline_kernelINS0_14default_configENS1_22reduce_config_selectorIN6thrust23THRUST_200600_302600_NS5tupleIbffNS6_9null_typeES8_S8_S8_S8_S8_S8_EEEEZNS1_11reduce_implILb1ES3_NS6_11hip_rocprim26transform_input_iterator_tIS9_NS6_12zip_iteratorINS7_INS6_17counting_iteratorIiNS6_11use_defaultESG_SG_EENS6_6detail15normal_iteratorINS6_10device_ptrIfEEEES8_S8_S8_S8_S8_S8_S8_S8_EEEE15transform_tupleIifEEEPS9_S9_12reduce_tupleIifEEE10hipError_tPvRmT1_T2_T3_mT4_P12ihipStream_tbEUlT_E1_NS1_11comp_targetILNS1_3genE0ELNS1_11target_archE4294967295ELNS1_3gpuE0ELNS1_3repE0EEENS1_30default_config_static_selectorELNS0_4arch9wavefront6targetE1EEEvSY_,"axG",@progbits,_ZN7rocprim17ROCPRIM_400000_NS6detail17trampoline_kernelINS0_14default_configENS1_22reduce_config_selectorIN6thrust23THRUST_200600_302600_NS5tupleIbffNS6_9null_typeES8_S8_S8_S8_S8_S8_EEEEZNS1_11reduce_implILb1ES3_NS6_11hip_rocprim26transform_input_iterator_tIS9_NS6_12zip_iteratorINS7_INS6_17counting_iteratorIiNS6_11use_defaultESG_SG_EENS6_6detail15normal_iteratorINS6_10device_ptrIfEEEES8_S8_S8_S8_S8_S8_S8_S8_EEEE15transform_tupleIifEEEPS9_S9_12reduce_tupleIifEEE10hipError_tPvRmT1_T2_T3_mT4_P12ihipStream_tbEUlT_E1_NS1_11comp_targetILNS1_3genE0ELNS1_11target_archE4294967295ELNS1_3gpuE0ELNS1_3repE0EEENS1_30default_config_static_selectorELNS0_4arch9wavefront6targetE1EEEvSY_,comdat
.Lfunc_end28:
	.size	_ZN7rocprim17ROCPRIM_400000_NS6detail17trampoline_kernelINS0_14default_configENS1_22reduce_config_selectorIN6thrust23THRUST_200600_302600_NS5tupleIbffNS6_9null_typeES8_S8_S8_S8_S8_S8_EEEEZNS1_11reduce_implILb1ES3_NS6_11hip_rocprim26transform_input_iterator_tIS9_NS6_12zip_iteratorINS7_INS6_17counting_iteratorIiNS6_11use_defaultESG_SG_EENS6_6detail15normal_iteratorINS6_10device_ptrIfEEEES8_S8_S8_S8_S8_S8_S8_S8_EEEE15transform_tupleIifEEEPS9_S9_12reduce_tupleIifEEE10hipError_tPvRmT1_T2_T3_mT4_P12ihipStream_tbEUlT_E1_NS1_11comp_targetILNS1_3genE0ELNS1_11target_archE4294967295ELNS1_3gpuE0ELNS1_3repE0EEENS1_30default_config_static_selectorELNS0_4arch9wavefront6targetE1EEEvSY_, .Lfunc_end28-_ZN7rocprim17ROCPRIM_400000_NS6detail17trampoline_kernelINS0_14default_configENS1_22reduce_config_selectorIN6thrust23THRUST_200600_302600_NS5tupleIbffNS6_9null_typeES8_S8_S8_S8_S8_S8_EEEEZNS1_11reduce_implILb1ES3_NS6_11hip_rocprim26transform_input_iterator_tIS9_NS6_12zip_iteratorINS7_INS6_17counting_iteratorIiNS6_11use_defaultESG_SG_EENS6_6detail15normal_iteratorINS6_10device_ptrIfEEEES8_S8_S8_S8_S8_S8_S8_S8_EEEE15transform_tupleIifEEEPS9_S9_12reduce_tupleIifEEE10hipError_tPvRmT1_T2_T3_mT4_P12ihipStream_tbEUlT_E1_NS1_11comp_targetILNS1_3genE0ELNS1_11target_archE4294967295ELNS1_3gpuE0ELNS1_3repE0EEENS1_30default_config_static_selectorELNS0_4arch9wavefront6targetE1EEEvSY_
                                        ; -- End function
	.set _ZN7rocprim17ROCPRIM_400000_NS6detail17trampoline_kernelINS0_14default_configENS1_22reduce_config_selectorIN6thrust23THRUST_200600_302600_NS5tupleIbffNS6_9null_typeES8_S8_S8_S8_S8_S8_EEEEZNS1_11reduce_implILb1ES3_NS6_11hip_rocprim26transform_input_iterator_tIS9_NS6_12zip_iteratorINS7_INS6_17counting_iteratorIiNS6_11use_defaultESG_SG_EENS6_6detail15normal_iteratorINS6_10device_ptrIfEEEES8_S8_S8_S8_S8_S8_S8_S8_EEEE15transform_tupleIifEEEPS9_S9_12reduce_tupleIifEEE10hipError_tPvRmT1_T2_T3_mT4_P12ihipStream_tbEUlT_E1_NS1_11comp_targetILNS1_3genE0ELNS1_11target_archE4294967295ELNS1_3gpuE0ELNS1_3repE0EEENS1_30default_config_static_selectorELNS0_4arch9wavefront6targetE1EEEvSY_.num_vgpr, 0
	.set _ZN7rocprim17ROCPRIM_400000_NS6detail17trampoline_kernelINS0_14default_configENS1_22reduce_config_selectorIN6thrust23THRUST_200600_302600_NS5tupleIbffNS6_9null_typeES8_S8_S8_S8_S8_S8_EEEEZNS1_11reduce_implILb1ES3_NS6_11hip_rocprim26transform_input_iterator_tIS9_NS6_12zip_iteratorINS7_INS6_17counting_iteratorIiNS6_11use_defaultESG_SG_EENS6_6detail15normal_iteratorINS6_10device_ptrIfEEEES8_S8_S8_S8_S8_S8_S8_S8_EEEE15transform_tupleIifEEEPS9_S9_12reduce_tupleIifEEE10hipError_tPvRmT1_T2_T3_mT4_P12ihipStream_tbEUlT_E1_NS1_11comp_targetILNS1_3genE0ELNS1_11target_archE4294967295ELNS1_3gpuE0ELNS1_3repE0EEENS1_30default_config_static_selectorELNS0_4arch9wavefront6targetE1EEEvSY_.num_agpr, 0
	.set _ZN7rocprim17ROCPRIM_400000_NS6detail17trampoline_kernelINS0_14default_configENS1_22reduce_config_selectorIN6thrust23THRUST_200600_302600_NS5tupleIbffNS6_9null_typeES8_S8_S8_S8_S8_S8_EEEEZNS1_11reduce_implILb1ES3_NS6_11hip_rocprim26transform_input_iterator_tIS9_NS6_12zip_iteratorINS7_INS6_17counting_iteratorIiNS6_11use_defaultESG_SG_EENS6_6detail15normal_iteratorINS6_10device_ptrIfEEEES8_S8_S8_S8_S8_S8_S8_S8_EEEE15transform_tupleIifEEEPS9_S9_12reduce_tupleIifEEE10hipError_tPvRmT1_T2_T3_mT4_P12ihipStream_tbEUlT_E1_NS1_11comp_targetILNS1_3genE0ELNS1_11target_archE4294967295ELNS1_3gpuE0ELNS1_3repE0EEENS1_30default_config_static_selectorELNS0_4arch9wavefront6targetE1EEEvSY_.numbered_sgpr, 0
	.set _ZN7rocprim17ROCPRIM_400000_NS6detail17trampoline_kernelINS0_14default_configENS1_22reduce_config_selectorIN6thrust23THRUST_200600_302600_NS5tupleIbffNS6_9null_typeES8_S8_S8_S8_S8_S8_EEEEZNS1_11reduce_implILb1ES3_NS6_11hip_rocprim26transform_input_iterator_tIS9_NS6_12zip_iteratorINS7_INS6_17counting_iteratorIiNS6_11use_defaultESG_SG_EENS6_6detail15normal_iteratorINS6_10device_ptrIfEEEES8_S8_S8_S8_S8_S8_S8_S8_EEEE15transform_tupleIifEEEPS9_S9_12reduce_tupleIifEEE10hipError_tPvRmT1_T2_T3_mT4_P12ihipStream_tbEUlT_E1_NS1_11comp_targetILNS1_3genE0ELNS1_11target_archE4294967295ELNS1_3gpuE0ELNS1_3repE0EEENS1_30default_config_static_selectorELNS0_4arch9wavefront6targetE1EEEvSY_.num_named_barrier, 0
	.set _ZN7rocprim17ROCPRIM_400000_NS6detail17trampoline_kernelINS0_14default_configENS1_22reduce_config_selectorIN6thrust23THRUST_200600_302600_NS5tupleIbffNS6_9null_typeES8_S8_S8_S8_S8_S8_EEEEZNS1_11reduce_implILb1ES3_NS6_11hip_rocprim26transform_input_iterator_tIS9_NS6_12zip_iteratorINS7_INS6_17counting_iteratorIiNS6_11use_defaultESG_SG_EENS6_6detail15normal_iteratorINS6_10device_ptrIfEEEES8_S8_S8_S8_S8_S8_S8_S8_EEEE15transform_tupleIifEEEPS9_S9_12reduce_tupleIifEEE10hipError_tPvRmT1_T2_T3_mT4_P12ihipStream_tbEUlT_E1_NS1_11comp_targetILNS1_3genE0ELNS1_11target_archE4294967295ELNS1_3gpuE0ELNS1_3repE0EEENS1_30default_config_static_selectorELNS0_4arch9wavefront6targetE1EEEvSY_.private_seg_size, 0
	.set _ZN7rocprim17ROCPRIM_400000_NS6detail17trampoline_kernelINS0_14default_configENS1_22reduce_config_selectorIN6thrust23THRUST_200600_302600_NS5tupleIbffNS6_9null_typeES8_S8_S8_S8_S8_S8_EEEEZNS1_11reduce_implILb1ES3_NS6_11hip_rocprim26transform_input_iterator_tIS9_NS6_12zip_iteratorINS7_INS6_17counting_iteratorIiNS6_11use_defaultESG_SG_EENS6_6detail15normal_iteratorINS6_10device_ptrIfEEEES8_S8_S8_S8_S8_S8_S8_S8_EEEE15transform_tupleIifEEEPS9_S9_12reduce_tupleIifEEE10hipError_tPvRmT1_T2_T3_mT4_P12ihipStream_tbEUlT_E1_NS1_11comp_targetILNS1_3genE0ELNS1_11target_archE4294967295ELNS1_3gpuE0ELNS1_3repE0EEENS1_30default_config_static_selectorELNS0_4arch9wavefront6targetE1EEEvSY_.uses_vcc, 0
	.set _ZN7rocprim17ROCPRIM_400000_NS6detail17trampoline_kernelINS0_14default_configENS1_22reduce_config_selectorIN6thrust23THRUST_200600_302600_NS5tupleIbffNS6_9null_typeES8_S8_S8_S8_S8_S8_EEEEZNS1_11reduce_implILb1ES3_NS6_11hip_rocprim26transform_input_iterator_tIS9_NS6_12zip_iteratorINS7_INS6_17counting_iteratorIiNS6_11use_defaultESG_SG_EENS6_6detail15normal_iteratorINS6_10device_ptrIfEEEES8_S8_S8_S8_S8_S8_S8_S8_EEEE15transform_tupleIifEEEPS9_S9_12reduce_tupleIifEEE10hipError_tPvRmT1_T2_T3_mT4_P12ihipStream_tbEUlT_E1_NS1_11comp_targetILNS1_3genE0ELNS1_11target_archE4294967295ELNS1_3gpuE0ELNS1_3repE0EEENS1_30default_config_static_selectorELNS0_4arch9wavefront6targetE1EEEvSY_.uses_flat_scratch, 0
	.set _ZN7rocprim17ROCPRIM_400000_NS6detail17trampoline_kernelINS0_14default_configENS1_22reduce_config_selectorIN6thrust23THRUST_200600_302600_NS5tupleIbffNS6_9null_typeES8_S8_S8_S8_S8_S8_EEEEZNS1_11reduce_implILb1ES3_NS6_11hip_rocprim26transform_input_iterator_tIS9_NS6_12zip_iteratorINS7_INS6_17counting_iteratorIiNS6_11use_defaultESG_SG_EENS6_6detail15normal_iteratorINS6_10device_ptrIfEEEES8_S8_S8_S8_S8_S8_S8_S8_EEEE15transform_tupleIifEEEPS9_S9_12reduce_tupleIifEEE10hipError_tPvRmT1_T2_T3_mT4_P12ihipStream_tbEUlT_E1_NS1_11comp_targetILNS1_3genE0ELNS1_11target_archE4294967295ELNS1_3gpuE0ELNS1_3repE0EEENS1_30default_config_static_selectorELNS0_4arch9wavefront6targetE1EEEvSY_.has_dyn_sized_stack, 0
	.set _ZN7rocprim17ROCPRIM_400000_NS6detail17trampoline_kernelINS0_14default_configENS1_22reduce_config_selectorIN6thrust23THRUST_200600_302600_NS5tupleIbffNS6_9null_typeES8_S8_S8_S8_S8_S8_EEEEZNS1_11reduce_implILb1ES3_NS6_11hip_rocprim26transform_input_iterator_tIS9_NS6_12zip_iteratorINS7_INS6_17counting_iteratorIiNS6_11use_defaultESG_SG_EENS6_6detail15normal_iteratorINS6_10device_ptrIfEEEES8_S8_S8_S8_S8_S8_S8_S8_EEEE15transform_tupleIifEEEPS9_S9_12reduce_tupleIifEEE10hipError_tPvRmT1_T2_T3_mT4_P12ihipStream_tbEUlT_E1_NS1_11comp_targetILNS1_3genE0ELNS1_11target_archE4294967295ELNS1_3gpuE0ELNS1_3repE0EEENS1_30default_config_static_selectorELNS0_4arch9wavefront6targetE1EEEvSY_.has_recursion, 0
	.set _ZN7rocprim17ROCPRIM_400000_NS6detail17trampoline_kernelINS0_14default_configENS1_22reduce_config_selectorIN6thrust23THRUST_200600_302600_NS5tupleIbffNS6_9null_typeES8_S8_S8_S8_S8_S8_EEEEZNS1_11reduce_implILb1ES3_NS6_11hip_rocprim26transform_input_iterator_tIS9_NS6_12zip_iteratorINS7_INS6_17counting_iteratorIiNS6_11use_defaultESG_SG_EENS6_6detail15normal_iteratorINS6_10device_ptrIfEEEES8_S8_S8_S8_S8_S8_S8_S8_EEEE15transform_tupleIifEEEPS9_S9_12reduce_tupleIifEEE10hipError_tPvRmT1_T2_T3_mT4_P12ihipStream_tbEUlT_E1_NS1_11comp_targetILNS1_3genE0ELNS1_11target_archE4294967295ELNS1_3gpuE0ELNS1_3repE0EEENS1_30default_config_static_selectorELNS0_4arch9wavefront6targetE1EEEvSY_.has_indirect_call, 0
	.section	.AMDGPU.csdata,"",@progbits
; Kernel info:
; codeLenInByte = 0
; TotalNumSgprs: 4
; NumVgprs: 0
; ScratchSize: 0
; MemoryBound: 0
; FloatMode: 240
; IeeeMode: 1
; LDSByteSize: 0 bytes/workgroup (compile time only)
; SGPRBlocks: 0
; VGPRBlocks: 0
; NumSGPRsForWavesPerEU: 4
; NumVGPRsForWavesPerEU: 1
; Occupancy: 10
; WaveLimiterHint : 0
; COMPUTE_PGM_RSRC2:SCRATCH_EN: 0
; COMPUTE_PGM_RSRC2:USER_SGPR: 6
; COMPUTE_PGM_RSRC2:TRAP_HANDLER: 0
; COMPUTE_PGM_RSRC2:TGID_X_EN: 1
; COMPUTE_PGM_RSRC2:TGID_Y_EN: 0
; COMPUTE_PGM_RSRC2:TGID_Z_EN: 0
; COMPUTE_PGM_RSRC2:TIDIG_COMP_CNT: 0
	.section	.text._ZN7rocprim17ROCPRIM_400000_NS6detail17trampoline_kernelINS0_14default_configENS1_22reduce_config_selectorIN6thrust23THRUST_200600_302600_NS5tupleIbffNS6_9null_typeES8_S8_S8_S8_S8_S8_EEEEZNS1_11reduce_implILb1ES3_NS6_11hip_rocprim26transform_input_iterator_tIS9_NS6_12zip_iteratorINS7_INS6_17counting_iteratorIiNS6_11use_defaultESG_SG_EENS6_6detail15normal_iteratorINS6_10device_ptrIfEEEES8_S8_S8_S8_S8_S8_S8_S8_EEEE15transform_tupleIifEEEPS9_S9_12reduce_tupleIifEEE10hipError_tPvRmT1_T2_T3_mT4_P12ihipStream_tbEUlT_E1_NS1_11comp_targetILNS1_3genE5ELNS1_11target_archE942ELNS1_3gpuE9ELNS1_3repE0EEENS1_30default_config_static_selectorELNS0_4arch9wavefront6targetE1EEEvSY_,"axG",@progbits,_ZN7rocprim17ROCPRIM_400000_NS6detail17trampoline_kernelINS0_14default_configENS1_22reduce_config_selectorIN6thrust23THRUST_200600_302600_NS5tupleIbffNS6_9null_typeES8_S8_S8_S8_S8_S8_EEEEZNS1_11reduce_implILb1ES3_NS6_11hip_rocprim26transform_input_iterator_tIS9_NS6_12zip_iteratorINS7_INS6_17counting_iteratorIiNS6_11use_defaultESG_SG_EENS6_6detail15normal_iteratorINS6_10device_ptrIfEEEES8_S8_S8_S8_S8_S8_S8_S8_EEEE15transform_tupleIifEEEPS9_S9_12reduce_tupleIifEEE10hipError_tPvRmT1_T2_T3_mT4_P12ihipStream_tbEUlT_E1_NS1_11comp_targetILNS1_3genE5ELNS1_11target_archE942ELNS1_3gpuE9ELNS1_3repE0EEENS1_30default_config_static_selectorELNS0_4arch9wavefront6targetE1EEEvSY_,comdat
	.protected	_ZN7rocprim17ROCPRIM_400000_NS6detail17trampoline_kernelINS0_14default_configENS1_22reduce_config_selectorIN6thrust23THRUST_200600_302600_NS5tupleIbffNS6_9null_typeES8_S8_S8_S8_S8_S8_EEEEZNS1_11reduce_implILb1ES3_NS6_11hip_rocprim26transform_input_iterator_tIS9_NS6_12zip_iteratorINS7_INS6_17counting_iteratorIiNS6_11use_defaultESG_SG_EENS6_6detail15normal_iteratorINS6_10device_ptrIfEEEES8_S8_S8_S8_S8_S8_S8_S8_EEEE15transform_tupleIifEEEPS9_S9_12reduce_tupleIifEEE10hipError_tPvRmT1_T2_T3_mT4_P12ihipStream_tbEUlT_E1_NS1_11comp_targetILNS1_3genE5ELNS1_11target_archE942ELNS1_3gpuE9ELNS1_3repE0EEENS1_30default_config_static_selectorELNS0_4arch9wavefront6targetE1EEEvSY_ ; -- Begin function _ZN7rocprim17ROCPRIM_400000_NS6detail17trampoline_kernelINS0_14default_configENS1_22reduce_config_selectorIN6thrust23THRUST_200600_302600_NS5tupleIbffNS6_9null_typeES8_S8_S8_S8_S8_S8_EEEEZNS1_11reduce_implILb1ES3_NS6_11hip_rocprim26transform_input_iterator_tIS9_NS6_12zip_iteratorINS7_INS6_17counting_iteratorIiNS6_11use_defaultESG_SG_EENS6_6detail15normal_iteratorINS6_10device_ptrIfEEEES8_S8_S8_S8_S8_S8_S8_S8_EEEE15transform_tupleIifEEEPS9_S9_12reduce_tupleIifEEE10hipError_tPvRmT1_T2_T3_mT4_P12ihipStream_tbEUlT_E1_NS1_11comp_targetILNS1_3genE5ELNS1_11target_archE942ELNS1_3gpuE9ELNS1_3repE0EEENS1_30default_config_static_selectorELNS0_4arch9wavefront6targetE1EEEvSY_
	.globl	_ZN7rocprim17ROCPRIM_400000_NS6detail17trampoline_kernelINS0_14default_configENS1_22reduce_config_selectorIN6thrust23THRUST_200600_302600_NS5tupleIbffNS6_9null_typeES8_S8_S8_S8_S8_S8_EEEEZNS1_11reduce_implILb1ES3_NS6_11hip_rocprim26transform_input_iterator_tIS9_NS6_12zip_iteratorINS7_INS6_17counting_iteratorIiNS6_11use_defaultESG_SG_EENS6_6detail15normal_iteratorINS6_10device_ptrIfEEEES8_S8_S8_S8_S8_S8_S8_S8_EEEE15transform_tupleIifEEEPS9_S9_12reduce_tupleIifEEE10hipError_tPvRmT1_T2_T3_mT4_P12ihipStream_tbEUlT_E1_NS1_11comp_targetILNS1_3genE5ELNS1_11target_archE942ELNS1_3gpuE9ELNS1_3repE0EEENS1_30default_config_static_selectorELNS0_4arch9wavefront6targetE1EEEvSY_
	.p2align	8
	.type	_ZN7rocprim17ROCPRIM_400000_NS6detail17trampoline_kernelINS0_14default_configENS1_22reduce_config_selectorIN6thrust23THRUST_200600_302600_NS5tupleIbffNS6_9null_typeES8_S8_S8_S8_S8_S8_EEEEZNS1_11reduce_implILb1ES3_NS6_11hip_rocprim26transform_input_iterator_tIS9_NS6_12zip_iteratorINS7_INS6_17counting_iteratorIiNS6_11use_defaultESG_SG_EENS6_6detail15normal_iteratorINS6_10device_ptrIfEEEES8_S8_S8_S8_S8_S8_S8_S8_EEEE15transform_tupleIifEEEPS9_S9_12reduce_tupleIifEEE10hipError_tPvRmT1_T2_T3_mT4_P12ihipStream_tbEUlT_E1_NS1_11comp_targetILNS1_3genE5ELNS1_11target_archE942ELNS1_3gpuE9ELNS1_3repE0EEENS1_30default_config_static_selectorELNS0_4arch9wavefront6targetE1EEEvSY_,@function
_ZN7rocprim17ROCPRIM_400000_NS6detail17trampoline_kernelINS0_14default_configENS1_22reduce_config_selectorIN6thrust23THRUST_200600_302600_NS5tupleIbffNS6_9null_typeES8_S8_S8_S8_S8_S8_EEEEZNS1_11reduce_implILb1ES3_NS6_11hip_rocprim26transform_input_iterator_tIS9_NS6_12zip_iteratorINS7_INS6_17counting_iteratorIiNS6_11use_defaultESG_SG_EENS6_6detail15normal_iteratorINS6_10device_ptrIfEEEES8_S8_S8_S8_S8_S8_S8_S8_EEEE15transform_tupleIifEEEPS9_S9_12reduce_tupleIifEEE10hipError_tPvRmT1_T2_T3_mT4_P12ihipStream_tbEUlT_E1_NS1_11comp_targetILNS1_3genE5ELNS1_11target_archE942ELNS1_3gpuE9ELNS1_3repE0EEENS1_30default_config_static_selectorELNS0_4arch9wavefront6targetE1EEEvSY_: ; @_ZN7rocprim17ROCPRIM_400000_NS6detail17trampoline_kernelINS0_14default_configENS1_22reduce_config_selectorIN6thrust23THRUST_200600_302600_NS5tupleIbffNS6_9null_typeES8_S8_S8_S8_S8_S8_EEEEZNS1_11reduce_implILb1ES3_NS6_11hip_rocprim26transform_input_iterator_tIS9_NS6_12zip_iteratorINS7_INS6_17counting_iteratorIiNS6_11use_defaultESG_SG_EENS6_6detail15normal_iteratorINS6_10device_ptrIfEEEES8_S8_S8_S8_S8_S8_S8_S8_EEEE15transform_tupleIifEEEPS9_S9_12reduce_tupleIifEEE10hipError_tPvRmT1_T2_T3_mT4_P12ihipStream_tbEUlT_E1_NS1_11comp_targetILNS1_3genE5ELNS1_11target_archE942ELNS1_3gpuE9ELNS1_3repE0EEENS1_30default_config_static_selectorELNS0_4arch9wavefront6targetE1EEEvSY_
; %bb.0:
	.section	.rodata,"a",@progbits
	.p2align	6, 0x0
	.amdhsa_kernel _ZN7rocprim17ROCPRIM_400000_NS6detail17trampoline_kernelINS0_14default_configENS1_22reduce_config_selectorIN6thrust23THRUST_200600_302600_NS5tupleIbffNS6_9null_typeES8_S8_S8_S8_S8_S8_EEEEZNS1_11reduce_implILb1ES3_NS6_11hip_rocprim26transform_input_iterator_tIS9_NS6_12zip_iteratorINS7_INS6_17counting_iteratorIiNS6_11use_defaultESG_SG_EENS6_6detail15normal_iteratorINS6_10device_ptrIfEEEES8_S8_S8_S8_S8_S8_S8_S8_EEEE15transform_tupleIifEEEPS9_S9_12reduce_tupleIifEEE10hipError_tPvRmT1_T2_T3_mT4_P12ihipStream_tbEUlT_E1_NS1_11comp_targetILNS1_3genE5ELNS1_11target_archE942ELNS1_3gpuE9ELNS1_3repE0EEENS1_30default_config_static_selectorELNS0_4arch9wavefront6targetE1EEEvSY_
		.amdhsa_group_segment_fixed_size 0
		.amdhsa_private_segment_fixed_size 0
		.amdhsa_kernarg_size 64
		.amdhsa_user_sgpr_count 6
		.amdhsa_user_sgpr_private_segment_buffer 1
		.amdhsa_user_sgpr_dispatch_ptr 0
		.amdhsa_user_sgpr_queue_ptr 0
		.amdhsa_user_sgpr_kernarg_segment_ptr 1
		.amdhsa_user_sgpr_dispatch_id 0
		.amdhsa_user_sgpr_flat_scratch_init 0
		.amdhsa_user_sgpr_private_segment_size 0
		.amdhsa_uses_dynamic_stack 0
		.amdhsa_system_sgpr_private_segment_wavefront_offset 0
		.amdhsa_system_sgpr_workgroup_id_x 1
		.amdhsa_system_sgpr_workgroup_id_y 0
		.amdhsa_system_sgpr_workgroup_id_z 0
		.amdhsa_system_sgpr_workgroup_info 0
		.amdhsa_system_vgpr_workitem_id 0
		.amdhsa_next_free_vgpr 1
		.amdhsa_next_free_sgpr 0
		.amdhsa_reserve_vcc 0
		.amdhsa_reserve_flat_scratch 0
		.amdhsa_float_round_mode_32 0
		.amdhsa_float_round_mode_16_64 0
		.amdhsa_float_denorm_mode_32 3
		.amdhsa_float_denorm_mode_16_64 3
		.amdhsa_dx10_clamp 1
		.amdhsa_ieee_mode 1
		.amdhsa_fp16_overflow 0
		.amdhsa_exception_fp_ieee_invalid_op 0
		.amdhsa_exception_fp_denorm_src 0
		.amdhsa_exception_fp_ieee_div_zero 0
		.amdhsa_exception_fp_ieee_overflow 0
		.amdhsa_exception_fp_ieee_underflow 0
		.amdhsa_exception_fp_ieee_inexact 0
		.amdhsa_exception_int_div_zero 0
	.end_amdhsa_kernel
	.section	.text._ZN7rocprim17ROCPRIM_400000_NS6detail17trampoline_kernelINS0_14default_configENS1_22reduce_config_selectorIN6thrust23THRUST_200600_302600_NS5tupleIbffNS6_9null_typeES8_S8_S8_S8_S8_S8_EEEEZNS1_11reduce_implILb1ES3_NS6_11hip_rocprim26transform_input_iterator_tIS9_NS6_12zip_iteratorINS7_INS6_17counting_iteratorIiNS6_11use_defaultESG_SG_EENS6_6detail15normal_iteratorINS6_10device_ptrIfEEEES8_S8_S8_S8_S8_S8_S8_S8_EEEE15transform_tupleIifEEEPS9_S9_12reduce_tupleIifEEE10hipError_tPvRmT1_T2_T3_mT4_P12ihipStream_tbEUlT_E1_NS1_11comp_targetILNS1_3genE5ELNS1_11target_archE942ELNS1_3gpuE9ELNS1_3repE0EEENS1_30default_config_static_selectorELNS0_4arch9wavefront6targetE1EEEvSY_,"axG",@progbits,_ZN7rocprim17ROCPRIM_400000_NS6detail17trampoline_kernelINS0_14default_configENS1_22reduce_config_selectorIN6thrust23THRUST_200600_302600_NS5tupleIbffNS6_9null_typeES8_S8_S8_S8_S8_S8_EEEEZNS1_11reduce_implILb1ES3_NS6_11hip_rocprim26transform_input_iterator_tIS9_NS6_12zip_iteratorINS7_INS6_17counting_iteratorIiNS6_11use_defaultESG_SG_EENS6_6detail15normal_iteratorINS6_10device_ptrIfEEEES8_S8_S8_S8_S8_S8_S8_S8_EEEE15transform_tupleIifEEEPS9_S9_12reduce_tupleIifEEE10hipError_tPvRmT1_T2_T3_mT4_P12ihipStream_tbEUlT_E1_NS1_11comp_targetILNS1_3genE5ELNS1_11target_archE942ELNS1_3gpuE9ELNS1_3repE0EEENS1_30default_config_static_selectorELNS0_4arch9wavefront6targetE1EEEvSY_,comdat
.Lfunc_end29:
	.size	_ZN7rocprim17ROCPRIM_400000_NS6detail17trampoline_kernelINS0_14default_configENS1_22reduce_config_selectorIN6thrust23THRUST_200600_302600_NS5tupleIbffNS6_9null_typeES8_S8_S8_S8_S8_S8_EEEEZNS1_11reduce_implILb1ES3_NS6_11hip_rocprim26transform_input_iterator_tIS9_NS6_12zip_iteratorINS7_INS6_17counting_iteratorIiNS6_11use_defaultESG_SG_EENS6_6detail15normal_iteratorINS6_10device_ptrIfEEEES8_S8_S8_S8_S8_S8_S8_S8_EEEE15transform_tupleIifEEEPS9_S9_12reduce_tupleIifEEE10hipError_tPvRmT1_T2_T3_mT4_P12ihipStream_tbEUlT_E1_NS1_11comp_targetILNS1_3genE5ELNS1_11target_archE942ELNS1_3gpuE9ELNS1_3repE0EEENS1_30default_config_static_selectorELNS0_4arch9wavefront6targetE1EEEvSY_, .Lfunc_end29-_ZN7rocprim17ROCPRIM_400000_NS6detail17trampoline_kernelINS0_14default_configENS1_22reduce_config_selectorIN6thrust23THRUST_200600_302600_NS5tupleIbffNS6_9null_typeES8_S8_S8_S8_S8_S8_EEEEZNS1_11reduce_implILb1ES3_NS6_11hip_rocprim26transform_input_iterator_tIS9_NS6_12zip_iteratorINS7_INS6_17counting_iteratorIiNS6_11use_defaultESG_SG_EENS6_6detail15normal_iteratorINS6_10device_ptrIfEEEES8_S8_S8_S8_S8_S8_S8_S8_EEEE15transform_tupleIifEEEPS9_S9_12reduce_tupleIifEEE10hipError_tPvRmT1_T2_T3_mT4_P12ihipStream_tbEUlT_E1_NS1_11comp_targetILNS1_3genE5ELNS1_11target_archE942ELNS1_3gpuE9ELNS1_3repE0EEENS1_30default_config_static_selectorELNS0_4arch9wavefront6targetE1EEEvSY_
                                        ; -- End function
	.set _ZN7rocprim17ROCPRIM_400000_NS6detail17trampoline_kernelINS0_14default_configENS1_22reduce_config_selectorIN6thrust23THRUST_200600_302600_NS5tupleIbffNS6_9null_typeES8_S8_S8_S8_S8_S8_EEEEZNS1_11reduce_implILb1ES3_NS6_11hip_rocprim26transform_input_iterator_tIS9_NS6_12zip_iteratorINS7_INS6_17counting_iteratorIiNS6_11use_defaultESG_SG_EENS6_6detail15normal_iteratorINS6_10device_ptrIfEEEES8_S8_S8_S8_S8_S8_S8_S8_EEEE15transform_tupleIifEEEPS9_S9_12reduce_tupleIifEEE10hipError_tPvRmT1_T2_T3_mT4_P12ihipStream_tbEUlT_E1_NS1_11comp_targetILNS1_3genE5ELNS1_11target_archE942ELNS1_3gpuE9ELNS1_3repE0EEENS1_30default_config_static_selectorELNS0_4arch9wavefront6targetE1EEEvSY_.num_vgpr, 0
	.set _ZN7rocprim17ROCPRIM_400000_NS6detail17trampoline_kernelINS0_14default_configENS1_22reduce_config_selectorIN6thrust23THRUST_200600_302600_NS5tupleIbffNS6_9null_typeES8_S8_S8_S8_S8_S8_EEEEZNS1_11reduce_implILb1ES3_NS6_11hip_rocprim26transform_input_iterator_tIS9_NS6_12zip_iteratorINS7_INS6_17counting_iteratorIiNS6_11use_defaultESG_SG_EENS6_6detail15normal_iteratorINS6_10device_ptrIfEEEES8_S8_S8_S8_S8_S8_S8_S8_EEEE15transform_tupleIifEEEPS9_S9_12reduce_tupleIifEEE10hipError_tPvRmT1_T2_T3_mT4_P12ihipStream_tbEUlT_E1_NS1_11comp_targetILNS1_3genE5ELNS1_11target_archE942ELNS1_3gpuE9ELNS1_3repE0EEENS1_30default_config_static_selectorELNS0_4arch9wavefront6targetE1EEEvSY_.num_agpr, 0
	.set _ZN7rocprim17ROCPRIM_400000_NS6detail17trampoline_kernelINS0_14default_configENS1_22reduce_config_selectorIN6thrust23THRUST_200600_302600_NS5tupleIbffNS6_9null_typeES8_S8_S8_S8_S8_S8_EEEEZNS1_11reduce_implILb1ES3_NS6_11hip_rocprim26transform_input_iterator_tIS9_NS6_12zip_iteratorINS7_INS6_17counting_iteratorIiNS6_11use_defaultESG_SG_EENS6_6detail15normal_iteratorINS6_10device_ptrIfEEEES8_S8_S8_S8_S8_S8_S8_S8_EEEE15transform_tupleIifEEEPS9_S9_12reduce_tupleIifEEE10hipError_tPvRmT1_T2_T3_mT4_P12ihipStream_tbEUlT_E1_NS1_11comp_targetILNS1_3genE5ELNS1_11target_archE942ELNS1_3gpuE9ELNS1_3repE0EEENS1_30default_config_static_selectorELNS0_4arch9wavefront6targetE1EEEvSY_.numbered_sgpr, 0
	.set _ZN7rocprim17ROCPRIM_400000_NS6detail17trampoline_kernelINS0_14default_configENS1_22reduce_config_selectorIN6thrust23THRUST_200600_302600_NS5tupleIbffNS6_9null_typeES8_S8_S8_S8_S8_S8_EEEEZNS1_11reduce_implILb1ES3_NS6_11hip_rocprim26transform_input_iterator_tIS9_NS6_12zip_iteratorINS7_INS6_17counting_iteratorIiNS6_11use_defaultESG_SG_EENS6_6detail15normal_iteratorINS6_10device_ptrIfEEEES8_S8_S8_S8_S8_S8_S8_S8_EEEE15transform_tupleIifEEEPS9_S9_12reduce_tupleIifEEE10hipError_tPvRmT1_T2_T3_mT4_P12ihipStream_tbEUlT_E1_NS1_11comp_targetILNS1_3genE5ELNS1_11target_archE942ELNS1_3gpuE9ELNS1_3repE0EEENS1_30default_config_static_selectorELNS0_4arch9wavefront6targetE1EEEvSY_.num_named_barrier, 0
	.set _ZN7rocprim17ROCPRIM_400000_NS6detail17trampoline_kernelINS0_14default_configENS1_22reduce_config_selectorIN6thrust23THRUST_200600_302600_NS5tupleIbffNS6_9null_typeES8_S8_S8_S8_S8_S8_EEEEZNS1_11reduce_implILb1ES3_NS6_11hip_rocprim26transform_input_iterator_tIS9_NS6_12zip_iteratorINS7_INS6_17counting_iteratorIiNS6_11use_defaultESG_SG_EENS6_6detail15normal_iteratorINS6_10device_ptrIfEEEES8_S8_S8_S8_S8_S8_S8_S8_EEEE15transform_tupleIifEEEPS9_S9_12reduce_tupleIifEEE10hipError_tPvRmT1_T2_T3_mT4_P12ihipStream_tbEUlT_E1_NS1_11comp_targetILNS1_3genE5ELNS1_11target_archE942ELNS1_3gpuE9ELNS1_3repE0EEENS1_30default_config_static_selectorELNS0_4arch9wavefront6targetE1EEEvSY_.private_seg_size, 0
	.set _ZN7rocprim17ROCPRIM_400000_NS6detail17trampoline_kernelINS0_14default_configENS1_22reduce_config_selectorIN6thrust23THRUST_200600_302600_NS5tupleIbffNS6_9null_typeES8_S8_S8_S8_S8_S8_EEEEZNS1_11reduce_implILb1ES3_NS6_11hip_rocprim26transform_input_iterator_tIS9_NS6_12zip_iteratorINS7_INS6_17counting_iteratorIiNS6_11use_defaultESG_SG_EENS6_6detail15normal_iteratorINS6_10device_ptrIfEEEES8_S8_S8_S8_S8_S8_S8_S8_EEEE15transform_tupleIifEEEPS9_S9_12reduce_tupleIifEEE10hipError_tPvRmT1_T2_T3_mT4_P12ihipStream_tbEUlT_E1_NS1_11comp_targetILNS1_3genE5ELNS1_11target_archE942ELNS1_3gpuE9ELNS1_3repE0EEENS1_30default_config_static_selectorELNS0_4arch9wavefront6targetE1EEEvSY_.uses_vcc, 0
	.set _ZN7rocprim17ROCPRIM_400000_NS6detail17trampoline_kernelINS0_14default_configENS1_22reduce_config_selectorIN6thrust23THRUST_200600_302600_NS5tupleIbffNS6_9null_typeES8_S8_S8_S8_S8_S8_EEEEZNS1_11reduce_implILb1ES3_NS6_11hip_rocprim26transform_input_iterator_tIS9_NS6_12zip_iteratorINS7_INS6_17counting_iteratorIiNS6_11use_defaultESG_SG_EENS6_6detail15normal_iteratorINS6_10device_ptrIfEEEES8_S8_S8_S8_S8_S8_S8_S8_EEEE15transform_tupleIifEEEPS9_S9_12reduce_tupleIifEEE10hipError_tPvRmT1_T2_T3_mT4_P12ihipStream_tbEUlT_E1_NS1_11comp_targetILNS1_3genE5ELNS1_11target_archE942ELNS1_3gpuE9ELNS1_3repE0EEENS1_30default_config_static_selectorELNS0_4arch9wavefront6targetE1EEEvSY_.uses_flat_scratch, 0
	.set _ZN7rocprim17ROCPRIM_400000_NS6detail17trampoline_kernelINS0_14default_configENS1_22reduce_config_selectorIN6thrust23THRUST_200600_302600_NS5tupleIbffNS6_9null_typeES8_S8_S8_S8_S8_S8_EEEEZNS1_11reduce_implILb1ES3_NS6_11hip_rocprim26transform_input_iterator_tIS9_NS6_12zip_iteratorINS7_INS6_17counting_iteratorIiNS6_11use_defaultESG_SG_EENS6_6detail15normal_iteratorINS6_10device_ptrIfEEEES8_S8_S8_S8_S8_S8_S8_S8_EEEE15transform_tupleIifEEEPS9_S9_12reduce_tupleIifEEE10hipError_tPvRmT1_T2_T3_mT4_P12ihipStream_tbEUlT_E1_NS1_11comp_targetILNS1_3genE5ELNS1_11target_archE942ELNS1_3gpuE9ELNS1_3repE0EEENS1_30default_config_static_selectorELNS0_4arch9wavefront6targetE1EEEvSY_.has_dyn_sized_stack, 0
	.set _ZN7rocprim17ROCPRIM_400000_NS6detail17trampoline_kernelINS0_14default_configENS1_22reduce_config_selectorIN6thrust23THRUST_200600_302600_NS5tupleIbffNS6_9null_typeES8_S8_S8_S8_S8_S8_EEEEZNS1_11reduce_implILb1ES3_NS6_11hip_rocprim26transform_input_iterator_tIS9_NS6_12zip_iteratorINS7_INS6_17counting_iteratorIiNS6_11use_defaultESG_SG_EENS6_6detail15normal_iteratorINS6_10device_ptrIfEEEES8_S8_S8_S8_S8_S8_S8_S8_EEEE15transform_tupleIifEEEPS9_S9_12reduce_tupleIifEEE10hipError_tPvRmT1_T2_T3_mT4_P12ihipStream_tbEUlT_E1_NS1_11comp_targetILNS1_3genE5ELNS1_11target_archE942ELNS1_3gpuE9ELNS1_3repE0EEENS1_30default_config_static_selectorELNS0_4arch9wavefront6targetE1EEEvSY_.has_recursion, 0
	.set _ZN7rocprim17ROCPRIM_400000_NS6detail17trampoline_kernelINS0_14default_configENS1_22reduce_config_selectorIN6thrust23THRUST_200600_302600_NS5tupleIbffNS6_9null_typeES8_S8_S8_S8_S8_S8_EEEEZNS1_11reduce_implILb1ES3_NS6_11hip_rocprim26transform_input_iterator_tIS9_NS6_12zip_iteratorINS7_INS6_17counting_iteratorIiNS6_11use_defaultESG_SG_EENS6_6detail15normal_iteratorINS6_10device_ptrIfEEEES8_S8_S8_S8_S8_S8_S8_S8_EEEE15transform_tupleIifEEEPS9_S9_12reduce_tupleIifEEE10hipError_tPvRmT1_T2_T3_mT4_P12ihipStream_tbEUlT_E1_NS1_11comp_targetILNS1_3genE5ELNS1_11target_archE942ELNS1_3gpuE9ELNS1_3repE0EEENS1_30default_config_static_selectorELNS0_4arch9wavefront6targetE1EEEvSY_.has_indirect_call, 0
	.section	.AMDGPU.csdata,"",@progbits
; Kernel info:
; codeLenInByte = 0
; TotalNumSgprs: 4
; NumVgprs: 0
; ScratchSize: 0
; MemoryBound: 0
; FloatMode: 240
; IeeeMode: 1
; LDSByteSize: 0 bytes/workgroup (compile time only)
; SGPRBlocks: 0
; VGPRBlocks: 0
; NumSGPRsForWavesPerEU: 4
; NumVGPRsForWavesPerEU: 1
; Occupancy: 10
; WaveLimiterHint : 0
; COMPUTE_PGM_RSRC2:SCRATCH_EN: 0
; COMPUTE_PGM_RSRC2:USER_SGPR: 6
; COMPUTE_PGM_RSRC2:TRAP_HANDLER: 0
; COMPUTE_PGM_RSRC2:TGID_X_EN: 1
; COMPUTE_PGM_RSRC2:TGID_Y_EN: 0
; COMPUTE_PGM_RSRC2:TGID_Z_EN: 0
; COMPUTE_PGM_RSRC2:TIDIG_COMP_CNT: 0
	.section	.text._ZN7rocprim17ROCPRIM_400000_NS6detail17trampoline_kernelINS0_14default_configENS1_22reduce_config_selectorIN6thrust23THRUST_200600_302600_NS5tupleIbffNS6_9null_typeES8_S8_S8_S8_S8_S8_EEEEZNS1_11reduce_implILb1ES3_NS6_11hip_rocprim26transform_input_iterator_tIS9_NS6_12zip_iteratorINS7_INS6_17counting_iteratorIiNS6_11use_defaultESG_SG_EENS6_6detail15normal_iteratorINS6_10device_ptrIfEEEES8_S8_S8_S8_S8_S8_S8_S8_EEEE15transform_tupleIifEEEPS9_S9_12reduce_tupleIifEEE10hipError_tPvRmT1_T2_T3_mT4_P12ihipStream_tbEUlT_E1_NS1_11comp_targetILNS1_3genE4ELNS1_11target_archE910ELNS1_3gpuE8ELNS1_3repE0EEENS1_30default_config_static_selectorELNS0_4arch9wavefront6targetE1EEEvSY_,"axG",@progbits,_ZN7rocprim17ROCPRIM_400000_NS6detail17trampoline_kernelINS0_14default_configENS1_22reduce_config_selectorIN6thrust23THRUST_200600_302600_NS5tupleIbffNS6_9null_typeES8_S8_S8_S8_S8_S8_EEEEZNS1_11reduce_implILb1ES3_NS6_11hip_rocprim26transform_input_iterator_tIS9_NS6_12zip_iteratorINS7_INS6_17counting_iteratorIiNS6_11use_defaultESG_SG_EENS6_6detail15normal_iteratorINS6_10device_ptrIfEEEES8_S8_S8_S8_S8_S8_S8_S8_EEEE15transform_tupleIifEEEPS9_S9_12reduce_tupleIifEEE10hipError_tPvRmT1_T2_T3_mT4_P12ihipStream_tbEUlT_E1_NS1_11comp_targetILNS1_3genE4ELNS1_11target_archE910ELNS1_3gpuE8ELNS1_3repE0EEENS1_30default_config_static_selectorELNS0_4arch9wavefront6targetE1EEEvSY_,comdat
	.protected	_ZN7rocprim17ROCPRIM_400000_NS6detail17trampoline_kernelINS0_14default_configENS1_22reduce_config_selectorIN6thrust23THRUST_200600_302600_NS5tupleIbffNS6_9null_typeES8_S8_S8_S8_S8_S8_EEEEZNS1_11reduce_implILb1ES3_NS6_11hip_rocprim26transform_input_iterator_tIS9_NS6_12zip_iteratorINS7_INS6_17counting_iteratorIiNS6_11use_defaultESG_SG_EENS6_6detail15normal_iteratorINS6_10device_ptrIfEEEES8_S8_S8_S8_S8_S8_S8_S8_EEEE15transform_tupleIifEEEPS9_S9_12reduce_tupleIifEEE10hipError_tPvRmT1_T2_T3_mT4_P12ihipStream_tbEUlT_E1_NS1_11comp_targetILNS1_3genE4ELNS1_11target_archE910ELNS1_3gpuE8ELNS1_3repE0EEENS1_30default_config_static_selectorELNS0_4arch9wavefront6targetE1EEEvSY_ ; -- Begin function _ZN7rocprim17ROCPRIM_400000_NS6detail17trampoline_kernelINS0_14default_configENS1_22reduce_config_selectorIN6thrust23THRUST_200600_302600_NS5tupleIbffNS6_9null_typeES8_S8_S8_S8_S8_S8_EEEEZNS1_11reduce_implILb1ES3_NS6_11hip_rocprim26transform_input_iterator_tIS9_NS6_12zip_iteratorINS7_INS6_17counting_iteratorIiNS6_11use_defaultESG_SG_EENS6_6detail15normal_iteratorINS6_10device_ptrIfEEEES8_S8_S8_S8_S8_S8_S8_S8_EEEE15transform_tupleIifEEEPS9_S9_12reduce_tupleIifEEE10hipError_tPvRmT1_T2_T3_mT4_P12ihipStream_tbEUlT_E1_NS1_11comp_targetILNS1_3genE4ELNS1_11target_archE910ELNS1_3gpuE8ELNS1_3repE0EEENS1_30default_config_static_selectorELNS0_4arch9wavefront6targetE1EEEvSY_
	.globl	_ZN7rocprim17ROCPRIM_400000_NS6detail17trampoline_kernelINS0_14default_configENS1_22reduce_config_selectorIN6thrust23THRUST_200600_302600_NS5tupleIbffNS6_9null_typeES8_S8_S8_S8_S8_S8_EEEEZNS1_11reduce_implILb1ES3_NS6_11hip_rocprim26transform_input_iterator_tIS9_NS6_12zip_iteratorINS7_INS6_17counting_iteratorIiNS6_11use_defaultESG_SG_EENS6_6detail15normal_iteratorINS6_10device_ptrIfEEEES8_S8_S8_S8_S8_S8_S8_S8_EEEE15transform_tupleIifEEEPS9_S9_12reduce_tupleIifEEE10hipError_tPvRmT1_T2_T3_mT4_P12ihipStream_tbEUlT_E1_NS1_11comp_targetILNS1_3genE4ELNS1_11target_archE910ELNS1_3gpuE8ELNS1_3repE0EEENS1_30default_config_static_selectorELNS0_4arch9wavefront6targetE1EEEvSY_
	.p2align	8
	.type	_ZN7rocprim17ROCPRIM_400000_NS6detail17trampoline_kernelINS0_14default_configENS1_22reduce_config_selectorIN6thrust23THRUST_200600_302600_NS5tupleIbffNS6_9null_typeES8_S8_S8_S8_S8_S8_EEEEZNS1_11reduce_implILb1ES3_NS6_11hip_rocprim26transform_input_iterator_tIS9_NS6_12zip_iteratorINS7_INS6_17counting_iteratorIiNS6_11use_defaultESG_SG_EENS6_6detail15normal_iteratorINS6_10device_ptrIfEEEES8_S8_S8_S8_S8_S8_S8_S8_EEEE15transform_tupleIifEEEPS9_S9_12reduce_tupleIifEEE10hipError_tPvRmT1_T2_T3_mT4_P12ihipStream_tbEUlT_E1_NS1_11comp_targetILNS1_3genE4ELNS1_11target_archE910ELNS1_3gpuE8ELNS1_3repE0EEENS1_30default_config_static_selectorELNS0_4arch9wavefront6targetE1EEEvSY_,@function
_ZN7rocprim17ROCPRIM_400000_NS6detail17trampoline_kernelINS0_14default_configENS1_22reduce_config_selectorIN6thrust23THRUST_200600_302600_NS5tupleIbffNS6_9null_typeES8_S8_S8_S8_S8_S8_EEEEZNS1_11reduce_implILb1ES3_NS6_11hip_rocprim26transform_input_iterator_tIS9_NS6_12zip_iteratorINS7_INS6_17counting_iteratorIiNS6_11use_defaultESG_SG_EENS6_6detail15normal_iteratorINS6_10device_ptrIfEEEES8_S8_S8_S8_S8_S8_S8_S8_EEEE15transform_tupleIifEEEPS9_S9_12reduce_tupleIifEEE10hipError_tPvRmT1_T2_T3_mT4_P12ihipStream_tbEUlT_E1_NS1_11comp_targetILNS1_3genE4ELNS1_11target_archE910ELNS1_3gpuE8ELNS1_3repE0EEENS1_30default_config_static_selectorELNS0_4arch9wavefront6targetE1EEEvSY_: ; @_ZN7rocprim17ROCPRIM_400000_NS6detail17trampoline_kernelINS0_14default_configENS1_22reduce_config_selectorIN6thrust23THRUST_200600_302600_NS5tupleIbffNS6_9null_typeES8_S8_S8_S8_S8_S8_EEEEZNS1_11reduce_implILb1ES3_NS6_11hip_rocprim26transform_input_iterator_tIS9_NS6_12zip_iteratorINS7_INS6_17counting_iteratorIiNS6_11use_defaultESG_SG_EENS6_6detail15normal_iteratorINS6_10device_ptrIfEEEES8_S8_S8_S8_S8_S8_S8_S8_EEEE15transform_tupleIifEEEPS9_S9_12reduce_tupleIifEEE10hipError_tPvRmT1_T2_T3_mT4_P12ihipStream_tbEUlT_E1_NS1_11comp_targetILNS1_3genE4ELNS1_11target_archE910ELNS1_3gpuE8ELNS1_3repE0EEENS1_30default_config_static_selectorELNS0_4arch9wavefront6targetE1EEEvSY_
; %bb.0:
	.section	.rodata,"a",@progbits
	.p2align	6, 0x0
	.amdhsa_kernel _ZN7rocprim17ROCPRIM_400000_NS6detail17trampoline_kernelINS0_14default_configENS1_22reduce_config_selectorIN6thrust23THRUST_200600_302600_NS5tupleIbffNS6_9null_typeES8_S8_S8_S8_S8_S8_EEEEZNS1_11reduce_implILb1ES3_NS6_11hip_rocprim26transform_input_iterator_tIS9_NS6_12zip_iteratorINS7_INS6_17counting_iteratorIiNS6_11use_defaultESG_SG_EENS6_6detail15normal_iteratorINS6_10device_ptrIfEEEES8_S8_S8_S8_S8_S8_S8_S8_EEEE15transform_tupleIifEEEPS9_S9_12reduce_tupleIifEEE10hipError_tPvRmT1_T2_T3_mT4_P12ihipStream_tbEUlT_E1_NS1_11comp_targetILNS1_3genE4ELNS1_11target_archE910ELNS1_3gpuE8ELNS1_3repE0EEENS1_30default_config_static_selectorELNS0_4arch9wavefront6targetE1EEEvSY_
		.amdhsa_group_segment_fixed_size 0
		.amdhsa_private_segment_fixed_size 0
		.amdhsa_kernarg_size 64
		.amdhsa_user_sgpr_count 6
		.amdhsa_user_sgpr_private_segment_buffer 1
		.amdhsa_user_sgpr_dispatch_ptr 0
		.amdhsa_user_sgpr_queue_ptr 0
		.amdhsa_user_sgpr_kernarg_segment_ptr 1
		.amdhsa_user_sgpr_dispatch_id 0
		.amdhsa_user_sgpr_flat_scratch_init 0
		.amdhsa_user_sgpr_private_segment_size 0
		.amdhsa_uses_dynamic_stack 0
		.amdhsa_system_sgpr_private_segment_wavefront_offset 0
		.amdhsa_system_sgpr_workgroup_id_x 1
		.amdhsa_system_sgpr_workgroup_id_y 0
		.amdhsa_system_sgpr_workgroup_id_z 0
		.amdhsa_system_sgpr_workgroup_info 0
		.amdhsa_system_vgpr_workitem_id 0
		.amdhsa_next_free_vgpr 1
		.amdhsa_next_free_sgpr 0
		.amdhsa_reserve_vcc 0
		.amdhsa_reserve_flat_scratch 0
		.amdhsa_float_round_mode_32 0
		.amdhsa_float_round_mode_16_64 0
		.amdhsa_float_denorm_mode_32 3
		.amdhsa_float_denorm_mode_16_64 3
		.amdhsa_dx10_clamp 1
		.amdhsa_ieee_mode 1
		.amdhsa_fp16_overflow 0
		.amdhsa_exception_fp_ieee_invalid_op 0
		.amdhsa_exception_fp_denorm_src 0
		.amdhsa_exception_fp_ieee_div_zero 0
		.amdhsa_exception_fp_ieee_overflow 0
		.amdhsa_exception_fp_ieee_underflow 0
		.amdhsa_exception_fp_ieee_inexact 0
		.amdhsa_exception_int_div_zero 0
	.end_amdhsa_kernel
	.section	.text._ZN7rocprim17ROCPRIM_400000_NS6detail17trampoline_kernelINS0_14default_configENS1_22reduce_config_selectorIN6thrust23THRUST_200600_302600_NS5tupleIbffNS6_9null_typeES8_S8_S8_S8_S8_S8_EEEEZNS1_11reduce_implILb1ES3_NS6_11hip_rocprim26transform_input_iterator_tIS9_NS6_12zip_iteratorINS7_INS6_17counting_iteratorIiNS6_11use_defaultESG_SG_EENS6_6detail15normal_iteratorINS6_10device_ptrIfEEEES8_S8_S8_S8_S8_S8_S8_S8_EEEE15transform_tupleIifEEEPS9_S9_12reduce_tupleIifEEE10hipError_tPvRmT1_T2_T3_mT4_P12ihipStream_tbEUlT_E1_NS1_11comp_targetILNS1_3genE4ELNS1_11target_archE910ELNS1_3gpuE8ELNS1_3repE0EEENS1_30default_config_static_selectorELNS0_4arch9wavefront6targetE1EEEvSY_,"axG",@progbits,_ZN7rocprim17ROCPRIM_400000_NS6detail17trampoline_kernelINS0_14default_configENS1_22reduce_config_selectorIN6thrust23THRUST_200600_302600_NS5tupleIbffNS6_9null_typeES8_S8_S8_S8_S8_S8_EEEEZNS1_11reduce_implILb1ES3_NS6_11hip_rocprim26transform_input_iterator_tIS9_NS6_12zip_iteratorINS7_INS6_17counting_iteratorIiNS6_11use_defaultESG_SG_EENS6_6detail15normal_iteratorINS6_10device_ptrIfEEEES8_S8_S8_S8_S8_S8_S8_S8_EEEE15transform_tupleIifEEEPS9_S9_12reduce_tupleIifEEE10hipError_tPvRmT1_T2_T3_mT4_P12ihipStream_tbEUlT_E1_NS1_11comp_targetILNS1_3genE4ELNS1_11target_archE910ELNS1_3gpuE8ELNS1_3repE0EEENS1_30default_config_static_selectorELNS0_4arch9wavefront6targetE1EEEvSY_,comdat
.Lfunc_end30:
	.size	_ZN7rocprim17ROCPRIM_400000_NS6detail17trampoline_kernelINS0_14default_configENS1_22reduce_config_selectorIN6thrust23THRUST_200600_302600_NS5tupleIbffNS6_9null_typeES8_S8_S8_S8_S8_S8_EEEEZNS1_11reduce_implILb1ES3_NS6_11hip_rocprim26transform_input_iterator_tIS9_NS6_12zip_iteratorINS7_INS6_17counting_iteratorIiNS6_11use_defaultESG_SG_EENS6_6detail15normal_iteratorINS6_10device_ptrIfEEEES8_S8_S8_S8_S8_S8_S8_S8_EEEE15transform_tupleIifEEEPS9_S9_12reduce_tupleIifEEE10hipError_tPvRmT1_T2_T3_mT4_P12ihipStream_tbEUlT_E1_NS1_11comp_targetILNS1_3genE4ELNS1_11target_archE910ELNS1_3gpuE8ELNS1_3repE0EEENS1_30default_config_static_selectorELNS0_4arch9wavefront6targetE1EEEvSY_, .Lfunc_end30-_ZN7rocprim17ROCPRIM_400000_NS6detail17trampoline_kernelINS0_14default_configENS1_22reduce_config_selectorIN6thrust23THRUST_200600_302600_NS5tupleIbffNS6_9null_typeES8_S8_S8_S8_S8_S8_EEEEZNS1_11reduce_implILb1ES3_NS6_11hip_rocprim26transform_input_iterator_tIS9_NS6_12zip_iteratorINS7_INS6_17counting_iteratorIiNS6_11use_defaultESG_SG_EENS6_6detail15normal_iteratorINS6_10device_ptrIfEEEES8_S8_S8_S8_S8_S8_S8_S8_EEEE15transform_tupleIifEEEPS9_S9_12reduce_tupleIifEEE10hipError_tPvRmT1_T2_T3_mT4_P12ihipStream_tbEUlT_E1_NS1_11comp_targetILNS1_3genE4ELNS1_11target_archE910ELNS1_3gpuE8ELNS1_3repE0EEENS1_30default_config_static_selectorELNS0_4arch9wavefront6targetE1EEEvSY_
                                        ; -- End function
	.set _ZN7rocprim17ROCPRIM_400000_NS6detail17trampoline_kernelINS0_14default_configENS1_22reduce_config_selectorIN6thrust23THRUST_200600_302600_NS5tupleIbffNS6_9null_typeES8_S8_S8_S8_S8_S8_EEEEZNS1_11reduce_implILb1ES3_NS6_11hip_rocprim26transform_input_iterator_tIS9_NS6_12zip_iteratorINS7_INS6_17counting_iteratorIiNS6_11use_defaultESG_SG_EENS6_6detail15normal_iteratorINS6_10device_ptrIfEEEES8_S8_S8_S8_S8_S8_S8_S8_EEEE15transform_tupleIifEEEPS9_S9_12reduce_tupleIifEEE10hipError_tPvRmT1_T2_T3_mT4_P12ihipStream_tbEUlT_E1_NS1_11comp_targetILNS1_3genE4ELNS1_11target_archE910ELNS1_3gpuE8ELNS1_3repE0EEENS1_30default_config_static_selectorELNS0_4arch9wavefront6targetE1EEEvSY_.num_vgpr, 0
	.set _ZN7rocprim17ROCPRIM_400000_NS6detail17trampoline_kernelINS0_14default_configENS1_22reduce_config_selectorIN6thrust23THRUST_200600_302600_NS5tupleIbffNS6_9null_typeES8_S8_S8_S8_S8_S8_EEEEZNS1_11reduce_implILb1ES3_NS6_11hip_rocprim26transform_input_iterator_tIS9_NS6_12zip_iteratorINS7_INS6_17counting_iteratorIiNS6_11use_defaultESG_SG_EENS6_6detail15normal_iteratorINS6_10device_ptrIfEEEES8_S8_S8_S8_S8_S8_S8_S8_EEEE15transform_tupleIifEEEPS9_S9_12reduce_tupleIifEEE10hipError_tPvRmT1_T2_T3_mT4_P12ihipStream_tbEUlT_E1_NS1_11comp_targetILNS1_3genE4ELNS1_11target_archE910ELNS1_3gpuE8ELNS1_3repE0EEENS1_30default_config_static_selectorELNS0_4arch9wavefront6targetE1EEEvSY_.num_agpr, 0
	.set _ZN7rocprim17ROCPRIM_400000_NS6detail17trampoline_kernelINS0_14default_configENS1_22reduce_config_selectorIN6thrust23THRUST_200600_302600_NS5tupleIbffNS6_9null_typeES8_S8_S8_S8_S8_S8_EEEEZNS1_11reduce_implILb1ES3_NS6_11hip_rocprim26transform_input_iterator_tIS9_NS6_12zip_iteratorINS7_INS6_17counting_iteratorIiNS6_11use_defaultESG_SG_EENS6_6detail15normal_iteratorINS6_10device_ptrIfEEEES8_S8_S8_S8_S8_S8_S8_S8_EEEE15transform_tupleIifEEEPS9_S9_12reduce_tupleIifEEE10hipError_tPvRmT1_T2_T3_mT4_P12ihipStream_tbEUlT_E1_NS1_11comp_targetILNS1_3genE4ELNS1_11target_archE910ELNS1_3gpuE8ELNS1_3repE0EEENS1_30default_config_static_selectorELNS0_4arch9wavefront6targetE1EEEvSY_.numbered_sgpr, 0
	.set _ZN7rocprim17ROCPRIM_400000_NS6detail17trampoline_kernelINS0_14default_configENS1_22reduce_config_selectorIN6thrust23THRUST_200600_302600_NS5tupleIbffNS6_9null_typeES8_S8_S8_S8_S8_S8_EEEEZNS1_11reduce_implILb1ES3_NS6_11hip_rocprim26transform_input_iterator_tIS9_NS6_12zip_iteratorINS7_INS6_17counting_iteratorIiNS6_11use_defaultESG_SG_EENS6_6detail15normal_iteratorINS6_10device_ptrIfEEEES8_S8_S8_S8_S8_S8_S8_S8_EEEE15transform_tupleIifEEEPS9_S9_12reduce_tupleIifEEE10hipError_tPvRmT1_T2_T3_mT4_P12ihipStream_tbEUlT_E1_NS1_11comp_targetILNS1_3genE4ELNS1_11target_archE910ELNS1_3gpuE8ELNS1_3repE0EEENS1_30default_config_static_selectorELNS0_4arch9wavefront6targetE1EEEvSY_.num_named_barrier, 0
	.set _ZN7rocprim17ROCPRIM_400000_NS6detail17trampoline_kernelINS0_14default_configENS1_22reduce_config_selectorIN6thrust23THRUST_200600_302600_NS5tupleIbffNS6_9null_typeES8_S8_S8_S8_S8_S8_EEEEZNS1_11reduce_implILb1ES3_NS6_11hip_rocprim26transform_input_iterator_tIS9_NS6_12zip_iteratorINS7_INS6_17counting_iteratorIiNS6_11use_defaultESG_SG_EENS6_6detail15normal_iteratorINS6_10device_ptrIfEEEES8_S8_S8_S8_S8_S8_S8_S8_EEEE15transform_tupleIifEEEPS9_S9_12reduce_tupleIifEEE10hipError_tPvRmT1_T2_T3_mT4_P12ihipStream_tbEUlT_E1_NS1_11comp_targetILNS1_3genE4ELNS1_11target_archE910ELNS1_3gpuE8ELNS1_3repE0EEENS1_30default_config_static_selectorELNS0_4arch9wavefront6targetE1EEEvSY_.private_seg_size, 0
	.set _ZN7rocprim17ROCPRIM_400000_NS6detail17trampoline_kernelINS0_14default_configENS1_22reduce_config_selectorIN6thrust23THRUST_200600_302600_NS5tupleIbffNS6_9null_typeES8_S8_S8_S8_S8_S8_EEEEZNS1_11reduce_implILb1ES3_NS6_11hip_rocprim26transform_input_iterator_tIS9_NS6_12zip_iteratorINS7_INS6_17counting_iteratorIiNS6_11use_defaultESG_SG_EENS6_6detail15normal_iteratorINS6_10device_ptrIfEEEES8_S8_S8_S8_S8_S8_S8_S8_EEEE15transform_tupleIifEEEPS9_S9_12reduce_tupleIifEEE10hipError_tPvRmT1_T2_T3_mT4_P12ihipStream_tbEUlT_E1_NS1_11comp_targetILNS1_3genE4ELNS1_11target_archE910ELNS1_3gpuE8ELNS1_3repE0EEENS1_30default_config_static_selectorELNS0_4arch9wavefront6targetE1EEEvSY_.uses_vcc, 0
	.set _ZN7rocprim17ROCPRIM_400000_NS6detail17trampoline_kernelINS0_14default_configENS1_22reduce_config_selectorIN6thrust23THRUST_200600_302600_NS5tupleIbffNS6_9null_typeES8_S8_S8_S8_S8_S8_EEEEZNS1_11reduce_implILb1ES3_NS6_11hip_rocprim26transform_input_iterator_tIS9_NS6_12zip_iteratorINS7_INS6_17counting_iteratorIiNS6_11use_defaultESG_SG_EENS6_6detail15normal_iteratorINS6_10device_ptrIfEEEES8_S8_S8_S8_S8_S8_S8_S8_EEEE15transform_tupleIifEEEPS9_S9_12reduce_tupleIifEEE10hipError_tPvRmT1_T2_T3_mT4_P12ihipStream_tbEUlT_E1_NS1_11comp_targetILNS1_3genE4ELNS1_11target_archE910ELNS1_3gpuE8ELNS1_3repE0EEENS1_30default_config_static_selectorELNS0_4arch9wavefront6targetE1EEEvSY_.uses_flat_scratch, 0
	.set _ZN7rocprim17ROCPRIM_400000_NS6detail17trampoline_kernelINS0_14default_configENS1_22reduce_config_selectorIN6thrust23THRUST_200600_302600_NS5tupleIbffNS6_9null_typeES8_S8_S8_S8_S8_S8_EEEEZNS1_11reduce_implILb1ES3_NS6_11hip_rocprim26transform_input_iterator_tIS9_NS6_12zip_iteratorINS7_INS6_17counting_iteratorIiNS6_11use_defaultESG_SG_EENS6_6detail15normal_iteratorINS6_10device_ptrIfEEEES8_S8_S8_S8_S8_S8_S8_S8_EEEE15transform_tupleIifEEEPS9_S9_12reduce_tupleIifEEE10hipError_tPvRmT1_T2_T3_mT4_P12ihipStream_tbEUlT_E1_NS1_11comp_targetILNS1_3genE4ELNS1_11target_archE910ELNS1_3gpuE8ELNS1_3repE0EEENS1_30default_config_static_selectorELNS0_4arch9wavefront6targetE1EEEvSY_.has_dyn_sized_stack, 0
	.set _ZN7rocprim17ROCPRIM_400000_NS6detail17trampoline_kernelINS0_14default_configENS1_22reduce_config_selectorIN6thrust23THRUST_200600_302600_NS5tupleIbffNS6_9null_typeES8_S8_S8_S8_S8_S8_EEEEZNS1_11reduce_implILb1ES3_NS6_11hip_rocprim26transform_input_iterator_tIS9_NS6_12zip_iteratorINS7_INS6_17counting_iteratorIiNS6_11use_defaultESG_SG_EENS6_6detail15normal_iteratorINS6_10device_ptrIfEEEES8_S8_S8_S8_S8_S8_S8_S8_EEEE15transform_tupleIifEEEPS9_S9_12reduce_tupleIifEEE10hipError_tPvRmT1_T2_T3_mT4_P12ihipStream_tbEUlT_E1_NS1_11comp_targetILNS1_3genE4ELNS1_11target_archE910ELNS1_3gpuE8ELNS1_3repE0EEENS1_30default_config_static_selectorELNS0_4arch9wavefront6targetE1EEEvSY_.has_recursion, 0
	.set _ZN7rocprim17ROCPRIM_400000_NS6detail17trampoline_kernelINS0_14default_configENS1_22reduce_config_selectorIN6thrust23THRUST_200600_302600_NS5tupleIbffNS6_9null_typeES8_S8_S8_S8_S8_S8_EEEEZNS1_11reduce_implILb1ES3_NS6_11hip_rocprim26transform_input_iterator_tIS9_NS6_12zip_iteratorINS7_INS6_17counting_iteratorIiNS6_11use_defaultESG_SG_EENS6_6detail15normal_iteratorINS6_10device_ptrIfEEEES8_S8_S8_S8_S8_S8_S8_S8_EEEE15transform_tupleIifEEEPS9_S9_12reduce_tupleIifEEE10hipError_tPvRmT1_T2_T3_mT4_P12ihipStream_tbEUlT_E1_NS1_11comp_targetILNS1_3genE4ELNS1_11target_archE910ELNS1_3gpuE8ELNS1_3repE0EEENS1_30default_config_static_selectorELNS0_4arch9wavefront6targetE1EEEvSY_.has_indirect_call, 0
	.section	.AMDGPU.csdata,"",@progbits
; Kernel info:
; codeLenInByte = 0
; TotalNumSgprs: 4
; NumVgprs: 0
; ScratchSize: 0
; MemoryBound: 0
; FloatMode: 240
; IeeeMode: 1
; LDSByteSize: 0 bytes/workgroup (compile time only)
; SGPRBlocks: 0
; VGPRBlocks: 0
; NumSGPRsForWavesPerEU: 4
; NumVGPRsForWavesPerEU: 1
; Occupancy: 10
; WaveLimiterHint : 0
; COMPUTE_PGM_RSRC2:SCRATCH_EN: 0
; COMPUTE_PGM_RSRC2:USER_SGPR: 6
; COMPUTE_PGM_RSRC2:TRAP_HANDLER: 0
; COMPUTE_PGM_RSRC2:TGID_X_EN: 1
; COMPUTE_PGM_RSRC2:TGID_Y_EN: 0
; COMPUTE_PGM_RSRC2:TGID_Z_EN: 0
; COMPUTE_PGM_RSRC2:TIDIG_COMP_CNT: 0
	.section	.text._ZN7rocprim17ROCPRIM_400000_NS6detail17trampoline_kernelINS0_14default_configENS1_22reduce_config_selectorIN6thrust23THRUST_200600_302600_NS5tupleIbffNS6_9null_typeES8_S8_S8_S8_S8_S8_EEEEZNS1_11reduce_implILb1ES3_NS6_11hip_rocprim26transform_input_iterator_tIS9_NS6_12zip_iteratorINS7_INS6_17counting_iteratorIiNS6_11use_defaultESG_SG_EENS6_6detail15normal_iteratorINS6_10device_ptrIfEEEES8_S8_S8_S8_S8_S8_S8_S8_EEEE15transform_tupleIifEEEPS9_S9_12reduce_tupleIifEEE10hipError_tPvRmT1_T2_T3_mT4_P12ihipStream_tbEUlT_E1_NS1_11comp_targetILNS1_3genE3ELNS1_11target_archE908ELNS1_3gpuE7ELNS1_3repE0EEENS1_30default_config_static_selectorELNS0_4arch9wavefront6targetE1EEEvSY_,"axG",@progbits,_ZN7rocprim17ROCPRIM_400000_NS6detail17trampoline_kernelINS0_14default_configENS1_22reduce_config_selectorIN6thrust23THRUST_200600_302600_NS5tupleIbffNS6_9null_typeES8_S8_S8_S8_S8_S8_EEEEZNS1_11reduce_implILb1ES3_NS6_11hip_rocprim26transform_input_iterator_tIS9_NS6_12zip_iteratorINS7_INS6_17counting_iteratorIiNS6_11use_defaultESG_SG_EENS6_6detail15normal_iteratorINS6_10device_ptrIfEEEES8_S8_S8_S8_S8_S8_S8_S8_EEEE15transform_tupleIifEEEPS9_S9_12reduce_tupleIifEEE10hipError_tPvRmT1_T2_T3_mT4_P12ihipStream_tbEUlT_E1_NS1_11comp_targetILNS1_3genE3ELNS1_11target_archE908ELNS1_3gpuE7ELNS1_3repE0EEENS1_30default_config_static_selectorELNS0_4arch9wavefront6targetE1EEEvSY_,comdat
	.protected	_ZN7rocprim17ROCPRIM_400000_NS6detail17trampoline_kernelINS0_14default_configENS1_22reduce_config_selectorIN6thrust23THRUST_200600_302600_NS5tupleIbffNS6_9null_typeES8_S8_S8_S8_S8_S8_EEEEZNS1_11reduce_implILb1ES3_NS6_11hip_rocprim26transform_input_iterator_tIS9_NS6_12zip_iteratorINS7_INS6_17counting_iteratorIiNS6_11use_defaultESG_SG_EENS6_6detail15normal_iteratorINS6_10device_ptrIfEEEES8_S8_S8_S8_S8_S8_S8_S8_EEEE15transform_tupleIifEEEPS9_S9_12reduce_tupleIifEEE10hipError_tPvRmT1_T2_T3_mT4_P12ihipStream_tbEUlT_E1_NS1_11comp_targetILNS1_3genE3ELNS1_11target_archE908ELNS1_3gpuE7ELNS1_3repE0EEENS1_30default_config_static_selectorELNS0_4arch9wavefront6targetE1EEEvSY_ ; -- Begin function _ZN7rocprim17ROCPRIM_400000_NS6detail17trampoline_kernelINS0_14default_configENS1_22reduce_config_selectorIN6thrust23THRUST_200600_302600_NS5tupleIbffNS6_9null_typeES8_S8_S8_S8_S8_S8_EEEEZNS1_11reduce_implILb1ES3_NS6_11hip_rocprim26transform_input_iterator_tIS9_NS6_12zip_iteratorINS7_INS6_17counting_iteratorIiNS6_11use_defaultESG_SG_EENS6_6detail15normal_iteratorINS6_10device_ptrIfEEEES8_S8_S8_S8_S8_S8_S8_S8_EEEE15transform_tupleIifEEEPS9_S9_12reduce_tupleIifEEE10hipError_tPvRmT1_T2_T3_mT4_P12ihipStream_tbEUlT_E1_NS1_11comp_targetILNS1_3genE3ELNS1_11target_archE908ELNS1_3gpuE7ELNS1_3repE0EEENS1_30default_config_static_selectorELNS0_4arch9wavefront6targetE1EEEvSY_
	.globl	_ZN7rocprim17ROCPRIM_400000_NS6detail17trampoline_kernelINS0_14default_configENS1_22reduce_config_selectorIN6thrust23THRUST_200600_302600_NS5tupleIbffNS6_9null_typeES8_S8_S8_S8_S8_S8_EEEEZNS1_11reduce_implILb1ES3_NS6_11hip_rocprim26transform_input_iterator_tIS9_NS6_12zip_iteratorINS7_INS6_17counting_iteratorIiNS6_11use_defaultESG_SG_EENS6_6detail15normal_iteratorINS6_10device_ptrIfEEEES8_S8_S8_S8_S8_S8_S8_S8_EEEE15transform_tupleIifEEEPS9_S9_12reduce_tupleIifEEE10hipError_tPvRmT1_T2_T3_mT4_P12ihipStream_tbEUlT_E1_NS1_11comp_targetILNS1_3genE3ELNS1_11target_archE908ELNS1_3gpuE7ELNS1_3repE0EEENS1_30default_config_static_selectorELNS0_4arch9wavefront6targetE1EEEvSY_
	.p2align	8
	.type	_ZN7rocprim17ROCPRIM_400000_NS6detail17trampoline_kernelINS0_14default_configENS1_22reduce_config_selectorIN6thrust23THRUST_200600_302600_NS5tupleIbffNS6_9null_typeES8_S8_S8_S8_S8_S8_EEEEZNS1_11reduce_implILb1ES3_NS6_11hip_rocprim26transform_input_iterator_tIS9_NS6_12zip_iteratorINS7_INS6_17counting_iteratorIiNS6_11use_defaultESG_SG_EENS6_6detail15normal_iteratorINS6_10device_ptrIfEEEES8_S8_S8_S8_S8_S8_S8_S8_EEEE15transform_tupleIifEEEPS9_S9_12reduce_tupleIifEEE10hipError_tPvRmT1_T2_T3_mT4_P12ihipStream_tbEUlT_E1_NS1_11comp_targetILNS1_3genE3ELNS1_11target_archE908ELNS1_3gpuE7ELNS1_3repE0EEENS1_30default_config_static_selectorELNS0_4arch9wavefront6targetE1EEEvSY_,@function
_ZN7rocprim17ROCPRIM_400000_NS6detail17trampoline_kernelINS0_14default_configENS1_22reduce_config_selectorIN6thrust23THRUST_200600_302600_NS5tupleIbffNS6_9null_typeES8_S8_S8_S8_S8_S8_EEEEZNS1_11reduce_implILb1ES3_NS6_11hip_rocprim26transform_input_iterator_tIS9_NS6_12zip_iteratorINS7_INS6_17counting_iteratorIiNS6_11use_defaultESG_SG_EENS6_6detail15normal_iteratorINS6_10device_ptrIfEEEES8_S8_S8_S8_S8_S8_S8_S8_EEEE15transform_tupleIifEEEPS9_S9_12reduce_tupleIifEEE10hipError_tPvRmT1_T2_T3_mT4_P12ihipStream_tbEUlT_E1_NS1_11comp_targetILNS1_3genE3ELNS1_11target_archE908ELNS1_3gpuE7ELNS1_3repE0EEENS1_30default_config_static_selectorELNS0_4arch9wavefront6targetE1EEEvSY_: ; @_ZN7rocprim17ROCPRIM_400000_NS6detail17trampoline_kernelINS0_14default_configENS1_22reduce_config_selectorIN6thrust23THRUST_200600_302600_NS5tupleIbffNS6_9null_typeES8_S8_S8_S8_S8_S8_EEEEZNS1_11reduce_implILb1ES3_NS6_11hip_rocprim26transform_input_iterator_tIS9_NS6_12zip_iteratorINS7_INS6_17counting_iteratorIiNS6_11use_defaultESG_SG_EENS6_6detail15normal_iteratorINS6_10device_ptrIfEEEES8_S8_S8_S8_S8_S8_S8_S8_EEEE15transform_tupleIifEEEPS9_S9_12reduce_tupleIifEEE10hipError_tPvRmT1_T2_T3_mT4_P12ihipStream_tbEUlT_E1_NS1_11comp_targetILNS1_3genE3ELNS1_11target_archE908ELNS1_3gpuE7ELNS1_3repE0EEENS1_30default_config_static_selectorELNS0_4arch9wavefront6targetE1EEEvSY_
; %bb.0:
	.section	.rodata,"a",@progbits
	.p2align	6, 0x0
	.amdhsa_kernel _ZN7rocprim17ROCPRIM_400000_NS6detail17trampoline_kernelINS0_14default_configENS1_22reduce_config_selectorIN6thrust23THRUST_200600_302600_NS5tupleIbffNS6_9null_typeES8_S8_S8_S8_S8_S8_EEEEZNS1_11reduce_implILb1ES3_NS6_11hip_rocprim26transform_input_iterator_tIS9_NS6_12zip_iteratorINS7_INS6_17counting_iteratorIiNS6_11use_defaultESG_SG_EENS6_6detail15normal_iteratorINS6_10device_ptrIfEEEES8_S8_S8_S8_S8_S8_S8_S8_EEEE15transform_tupleIifEEEPS9_S9_12reduce_tupleIifEEE10hipError_tPvRmT1_T2_T3_mT4_P12ihipStream_tbEUlT_E1_NS1_11comp_targetILNS1_3genE3ELNS1_11target_archE908ELNS1_3gpuE7ELNS1_3repE0EEENS1_30default_config_static_selectorELNS0_4arch9wavefront6targetE1EEEvSY_
		.amdhsa_group_segment_fixed_size 0
		.amdhsa_private_segment_fixed_size 0
		.amdhsa_kernarg_size 64
		.amdhsa_user_sgpr_count 6
		.amdhsa_user_sgpr_private_segment_buffer 1
		.amdhsa_user_sgpr_dispatch_ptr 0
		.amdhsa_user_sgpr_queue_ptr 0
		.amdhsa_user_sgpr_kernarg_segment_ptr 1
		.amdhsa_user_sgpr_dispatch_id 0
		.amdhsa_user_sgpr_flat_scratch_init 0
		.amdhsa_user_sgpr_private_segment_size 0
		.amdhsa_uses_dynamic_stack 0
		.amdhsa_system_sgpr_private_segment_wavefront_offset 0
		.amdhsa_system_sgpr_workgroup_id_x 1
		.amdhsa_system_sgpr_workgroup_id_y 0
		.amdhsa_system_sgpr_workgroup_id_z 0
		.amdhsa_system_sgpr_workgroup_info 0
		.amdhsa_system_vgpr_workitem_id 0
		.amdhsa_next_free_vgpr 1
		.amdhsa_next_free_sgpr 0
		.amdhsa_reserve_vcc 0
		.amdhsa_reserve_flat_scratch 0
		.amdhsa_float_round_mode_32 0
		.amdhsa_float_round_mode_16_64 0
		.amdhsa_float_denorm_mode_32 3
		.amdhsa_float_denorm_mode_16_64 3
		.amdhsa_dx10_clamp 1
		.amdhsa_ieee_mode 1
		.amdhsa_fp16_overflow 0
		.amdhsa_exception_fp_ieee_invalid_op 0
		.amdhsa_exception_fp_denorm_src 0
		.amdhsa_exception_fp_ieee_div_zero 0
		.amdhsa_exception_fp_ieee_overflow 0
		.amdhsa_exception_fp_ieee_underflow 0
		.amdhsa_exception_fp_ieee_inexact 0
		.amdhsa_exception_int_div_zero 0
	.end_amdhsa_kernel
	.section	.text._ZN7rocprim17ROCPRIM_400000_NS6detail17trampoline_kernelINS0_14default_configENS1_22reduce_config_selectorIN6thrust23THRUST_200600_302600_NS5tupleIbffNS6_9null_typeES8_S8_S8_S8_S8_S8_EEEEZNS1_11reduce_implILb1ES3_NS6_11hip_rocprim26transform_input_iterator_tIS9_NS6_12zip_iteratorINS7_INS6_17counting_iteratorIiNS6_11use_defaultESG_SG_EENS6_6detail15normal_iteratorINS6_10device_ptrIfEEEES8_S8_S8_S8_S8_S8_S8_S8_EEEE15transform_tupleIifEEEPS9_S9_12reduce_tupleIifEEE10hipError_tPvRmT1_T2_T3_mT4_P12ihipStream_tbEUlT_E1_NS1_11comp_targetILNS1_3genE3ELNS1_11target_archE908ELNS1_3gpuE7ELNS1_3repE0EEENS1_30default_config_static_selectorELNS0_4arch9wavefront6targetE1EEEvSY_,"axG",@progbits,_ZN7rocprim17ROCPRIM_400000_NS6detail17trampoline_kernelINS0_14default_configENS1_22reduce_config_selectorIN6thrust23THRUST_200600_302600_NS5tupleIbffNS6_9null_typeES8_S8_S8_S8_S8_S8_EEEEZNS1_11reduce_implILb1ES3_NS6_11hip_rocprim26transform_input_iterator_tIS9_NS6_12zip_iteratorINS7_INS6_17counting_iteratorIiNS6_11use_defaultESG_SG_EENS6_6detail15normal_iteratorINS6_10device_ptrIfEEEES8_S8_S8_S8_S8_S8_S8_S8_EEEE15transform_tupleIifEEEPS9_S9_12reduce_tupleIifEEE10hipError_tPvRmT1_T2_T3_mT4_P12ihipStream_tbEUlT_E1_NS1_11comp_targetILNS1_3genE3ELNS1_11target_archE908ELNS1_3gpuE7ELNS1_3repE0EEENS1_30default_config_static_selectorELNS0_4arch9wavefront6targetE1EEEvSY_,comdat
.Lfunc_end31:
	.size	_ZN7rocprim17ROCPRIM_400000_NS6detail17trampoline_kernelINS0_14default_configENS1_22reduce_config_selectorIN6thrust23THRUST_200600_302600_NS5tupleIbffNS6_9null_typeES8_S8_S8_S8_S8_S8_EEEEZNS1_11reduce_implILb1ES3_NS6_11hip_rocprim26transform_input_iterator_tIS9_NS6_12zip_iteratorINS7_INS6_17counting_iteratorIiNS6_11use_defaultESG_SG_EENS6_6detail15normal_iteratorINS6_10device_ptrIfEEEES8_S8_S8_S8_S8_S8_S8_S8_EEEE15transform_tupleIifEEEPS9_S9_12reduce_tupleIifEEE10hipError_tPvRmT1_T2_T3_mT4_P12ihipStream_tbEUlT_E1_NS1_11comp_targetILNS1_3genE3ELNS1_11target_archE908ELNS1_3gpuE7ELNS1_3repE0EEENS1_30default_config_static_selectorELNS0_4arch9wavefront6targetE1EEEvSY_, .Lfunc_end31-_ZN7rocprim17ROCPRIM_400000_NS6detail17trampoline_kernelINS0_14default_configENS1_22reduce_config_selectorIN6thrust23THRUST_200600_302600_NS5tupleIbffNS6_9null_typeES8_S8_S8_S8_S8_S8_EEEEZNS1_11reduce_implILb1ES3_NS6_11hip_rocprim26transform_input_iterator_tIS9_NS6_12zip_iteratorINS7_INS6_17counting_iteratorIiNS6_11use_defaultESG_SG_EENS6_6detail15normal_iteratorINS6_10device_ptrIfEEEES8_S8_S8_S8_S8_S8_S8_S8_EEEE15transform_tupleIifEEEPS9_S9_12reduce_tupleIifEEE10hipError_tPvRmT1_T2_T3_mT4_P12ihipStream_tbEUlT_E1_NS1_11comp_targetILNS1_3genE3ELNS1_11target_archE908ELNS1_3gpuE7ELNS1_3repE0EEENS1_30default_config_static_selectorELNS0_4arch9wavefront6targetE1EEEvSY_
                                        ; -- End function
	.set _ZN7rocprim17ROCPRIM_400000_NS6detail17trampoline_kernelINS0_14default_configENS1_22reduce_config_selectorIN6thrust23THRUST_200600_302600_NS5tupleIbffNS6_9null_typeES8_S8_S8_S8_S8_S8_EEEEZNS1_11reduce_implILb1ES3_NS6_11hip_rocprim26transform_input_iterator_tIS9_NS6_12zip_iteratorINS7_INS6_17counting_iteratorIiNS6_11use_defaultESG_SG_EENS6_6detail15normal_iteratorINS6_10device_ptrIfEEEES8_S8_S8_S8_S8_S8_S8_S8_EEEE15transform_tupleIifEEEPS9_S9_12reduce_tupleIifEEE10hipError_tPvRmT1_T2_T3_mT4_P12ihipStream_tbEUlT_E1_NS1_11comp_targetILNS1_3genE3ELNS1_11target_archE908ELNS1_3gpuE7ELNS1_3repE0EEENS1_30default_config_static_selectorELNS0_4arch9wavefront6targetE1EEEvSY_.num_vgpr, 0
	.set _ZN7rocprim17ROCPRIM_400000_NS6detail17trampoline_kernelINS0_14default_configENS1_22reduce_config_selectorIN6thrust23THRUST_200600_302600_NS5tupleIbffNS6_9null_typeES8_S8_S8_S8_S8_S8_EEEEZNS1_11reduce_implILb1ES3_NS6_11hip_rocprim26transform_input_iterator_tIS9_NS6_12zip_iteratorINS7_INS6_17counting_iteratorIiNS6_11use_defaultESG_SG_EENS6_6detail15normal_iteratorINS6_10device_ptrIfEEEES8_S8_S8_S8_S8_S8_S8_S8_EEEE15transform_tupleIifEEEPS9_S9_12reduce_tupleIifEEE10hipError_tPvRmT1_T2_T3_mT4_P12ihipStream_tbEUlT_E1_NS1_11comp_targetILNS1_3genE3ELNS1_11target_archE908ELNS1_3gpuE7ELNS1_3repE0EEENS1_30default_config_static_selectorELNS0_4arch9wavefront6targetE1EEEvSY_.num_agpr, 0
	.set _ZN7rocprim17ROCPRIM_400000_NS6detail17trampoline_kernelINS0_14default_configENS1_22reduce_config_selectorIN6thrust23THRUST_200600_302600_NS5tupleIbffNS6_9null_typeES8_S8_S8_S8_S8_S8_EEEEZNS1_11reduce_implILb1ES3_NS6_11hip_rocprim26transform_input_iterator_tIS9_NS6_12zip_iteratorINS7_INS6_17counting_iteratorIiNS6_11use_defaultESG_SG_EENS6_6detail15normal_iteratorINS6_10device_ptrIfEEEES8_S8_S8_S8_S8_S8_S8_S8_EEEE15transform_tupleIifEEEPS9_S9_12reduce_tupleIifEEE10hipError_tPvRmT1_T2_T3_mT4_P12ihipStream_tbEUlT_E1_NS1_11comp_targetILNS1_3genE3ELNS1_11target_archE908ELNS1_3gpuE7ELNS1_3repE0EEENS1_30default_config_static_selectorELNS0_4arch9wavefront6targetE1EEEvSY_.numbered_sgpr, 0
	.set _ZN7rocprim17ROCPRIM_400000_NS6detail17trampoline_kernelINS0_14default_configENS1_22reduce_config_selectorIN6thrust23THRUST_200600_302600_NS5tupleIbffNS6_9null_typeES8_S8_S8_S8_S8_S8_EEEEZNS1_11reduce_implILb1ES3_NS6_11hip_rocprim26transform_input_iterator_tIS9_NS6_12zip_iteratorINS7_INS6_17counting_iteratorIiNS6_11use_defaultESG_SG_EENS6_6detail15normal_iteratorINS6_10device_ptrIfEEEES8_S8_S8_S8_S8_S8_S8_S8_EEEE15transform_tupleIifEEEPS9_S9_12reduce_tupleIifEEE10hipError_tPvRmT1_T2_T3_mT4_P12ihipStream_tbEUlT_E1_NS1_11comp_targetILNS1_3genE3ELNS1_11target_archE908ELNS1_3gpuE7ELNS1_3repE0EEENS1_30default_config_static_selectorELNS0_4arch9wavefront6targetE1EEEvSY_.num_named_barrier, 0
	.set _ZN7rocprim17ROCPRIM_400000_NS6detail17trampoline_kernelINS0_14default_configENS1_22reduce_config_selectorIN6thrust23THRUST_200600_302600_NS5tupleIbffNS6_9null_typeES8_S8_S8_S8_S8_S8_EEEEZNS1_11reduce_implILb1ES3_NS6_11hip_rocprim26transform_input_iterator_tIS9_NS6_12zip_iteratorINS7_INS6_17counting_iteratorIiNS6_11use_defaultESG_SG_EENS6_6detail15normal_iteratorINS6_10device_ptrIfEEEES8_S8_S8_S8_S8_S8_S8_S8_EEEE15transform_tupleIifEEEPS9_S9_12reduce_tupleIifEEE10hipError_tPvRmT1_T2_T3_mT4_P12ihipStream_tbEUlT_E1_NS1_11comp_targetILNS1_3genE3ELNS1_11target_archE908ELNS1_3gpuE7ELNS1_3repE0EEENS1_30default_config_static_selectorELNS0_4arch9wavefront6targetE1EEEvSY_.private_seg_size, 0
	.set _ZN7rocprim17ROCPRIM_400000_NS6detail17trampoline_kernelINS0_14default_configENS1_22reduce_config_selectorIN6thrust23THRUST_200600_302600_NS5tupleIbffNS6_9null_typeES8_S8_S8_S8_S8_S8_EEEEZNS1_11reduce_implILb1ES3_NS6_11hip_rocprim26transform_input_iterator_tIS9_NS6_12zip_iteratorINS7_INS6_17counting_iteratorIiNS6_11use_defaultESG_SG_EENS6_6detail15normal_iteratorINS6_10device_ptrIfEEEES8_S8_S8_S8_S8_S8_S8_S8_EEEE15transform_tupleIifEEEPS9_S9_12reduce_tupleIifEEE10hipError_tPvRmT1_T2_T3_mT4_P12ihipStream_tbEUlT_E1_NS1_11comp_targetILNS1_3genE3ELNS1_11target_archE908ELNS1_3gpuE7ELNS1_3repE0EEENS1_30default_config_static_selectorELNS0_4arch9wavefront6targetE1EEEvSY_.uses_vcc, 0
	.set _ZN7rocprim17ROCPRIM_400000_NS6detail17trampoline_kernelINS0_14default_configENS1_22reduce_config_selectorIN6thrust23THRUST_200600_302600_NS5tupleIbffNS6_9null_typeES8_S8_S8_S8_S8_S8_EEEEZNS1_11reduce_implILb1ES3_NS6_11hip_rocprim26transform_input_iterator_tIS9_NS6_12zip_iteratorINS7_INS6_17counting_iteratorIiNS6_11use_defaultESG_SG_EENS6_6detail15normal_iteratorINS6_10device_ptrIfEEEES8_S8_S8_S8_S8_S8_S8_S8_EEEE15transform_tupleIifEEEPS9_S9_12reduce_tupleIifEEE10hipError_tPvRmT1_T2_T3_mT4_P12ihipStream_tbEUlT_E1_NS1_11comp_targetILNS1_3genE3ELNS1_11target_archE908ELNS1_3gpuE7ELNS1_3repE0EEENS1_30default_config_static_selectorELNS0_4arch9wavefront6targetE1EEEvSY_.uses_flat_scratch, 0
	.set _ZN7rocprim17ROCPRIM_400000_NS6detail17trampoline_kernelINS0_14default_configENS1_22reduce_config_selectorIN6thrust23THRUST_200600_302600_NS5tupleIbffNS6_9null_typeES8_S8_S8_S8_S8_S8_EEEEZNS1_11reduce_implILb1ES3_NS6_11hip_rocprim26transform_input_iterator_tIS9_NS6_12zip_iteratorINS7_INS6_17counting_iteratorIiNS6_11use_defaultESG_SG_EENS6_6detail15normal_iteratorINS6_10device_ptrIfEEEES8_S8_S8_S8_S8_S8_S8_S8_EEEE15transform_tupleIifEEEPS9_S9_12reduce_tupleIifEEE10hipError_tPvRmT1_T2_T3_mT4_P12ihipStream_tbEUlT_E1_NS1_11comp_targetILNS1_3genE3ELNS1_11target_archE908ELNS1_3gpuE7ELNS1_3repE0EEENS1_30default_config_static_selectorELNS0_4arch9wavefront6targetE1EEEvSY_.has_dyn_sized_stack, 0
	.set _ZN7rocprim17ROCPRIM_400000_NS6detail17trampoline_kernelINS0_14default_configENS1_22reduce_config_selectorIN6thrust23THRUST_200600_302600_NS5tupleIbffNS6_9null_typeES8_S8_S8_S8_S8_S8_EEEEZNS1_11reduce_implILb1ES3_NS6_11hip_rocprim26transform_input_iterator_tIS9_NS6_12zip_iteratorINS7_INS6_17counting_iteratorIiNS6_11use_defaultESG_SG_EENS6_6detail15normal_iteratorINS6_10device_ptrIfEEEES8_S8_S8_S8_S8_S8_S8_S8_EEEE15transform_tupleIifEEEPS9_S9_12reduce_tupleIifEEE10hipError_tPvRmT1_T2_T3_mT4_P12ihipStream_tbEUlT_E1_NS1_11comp_targetILNS1_3genE3ELNS1_11target_archE908ELNS1_3gpuE7ELNS1_3repE0EEENS1_30default_config_static_selectorELNS0_4arch9wavefront6targetE1EEEvSY_.has_recursion, 0
	.set _ZN7rocprim17ROCPRIM_400000_NS6detail17trampoline_kernelINS0_14default_configENS1_22reduce_config_selectorIN6thrust23THRUST_200600_302600_NS5tupleIbffNS6_9null_typeES8_S8_S8_S8_S8_S8_EEEEZNS1_11reduce_implILb1ES3_NS6_11hip_rocprim26transform_input_iterator_tIS9_NS6_12zip_iteratorINS7_INS6_17counting_iteratorIiNS6_11use_defaultESG_SG_EENS6_6detail15normal_iteratorINS6_10device_ptrIfEEEES8_S8_S8_S8_S8_S8_S8_S8_EEEE15transform_tupleIifEEEPS9_S9_12reduce_tupleIifEEE10hipError_tPvRmT1_T2_T3_mT4_P12ihipStream_tbEUlT_E1_NS1_11comp_targetILNS1_3genE3ELNS1_11target_archE908ELNS1_3gpuE7ELNS1_3repE0EEENS1_30default_config_static_selectorELNS0_4arch9wavefront6targetE1EEEvSY_.has_indirect_call, 0
	.section	.AMDGPU.csdata,"",@progbits
; Kernel info:
; codeLenInByte = 0
; TotalNumSgprs: 4
; NumVgprs: 0
; ScratchSize: 0
; MemoryBound: 0
; FloatMode: 240
; IeeeMode: 1
; LDSByteSize: 0 bytes/workgroup (compile time only)
; SGPRBlocks: 0
; VGPRBlocks: 0
; NumSGPRsForWavesPerEU: 4
; NumVGPRsForWavesPerEU: 1
; Occupancy: 10
; WaveLimiterHint : 0
; COMPUTE_PGM_RSRC2:SCRATCH_EN: 0
; COMPUTE_PGM_RSRC2:USER_SGPR: 6
; COMPUTE_PGM_RSRC2:TRAP_HANDLER: 0
; COMPUTE_PGM_RSRC2:TGID_X_EN: 1
; COMPUTE_PGM_RSRC2:TGID_Y_EN: 0
; COMPUTE_PGM_RSRC2:TGID_Z_EN: 0
; COMPUTE_PGM_RSRC2:TIDIG_COMP_CNT: 0
	.section	.text._ZN7rocprim17ROCPRIM_400000_NS6detail17trampoline_kernelINS0_14default_configENS1_22reduce_config_selectorIN6thrust23THRUST_200600_302600_NS5tupleIbffNS6_9null_typeES8_S8_S8_S8_S8_S8_EEEEZNS1_11reduce_implILb1ES3_NS6_11hip_rocprim26transform_input_iterator_tIS9_NS6_12zip_iteratorINS7_INS6_17counting_iteratorIiNS6_11use_defaultESG_SG_EENS6_6detail15normal_iteratorINS6_10device_ptrIfEEEES8_S8_S8_S8_S8_S8_S8_S8_EEEE15transform_tupleIifEEEPS9_S9_12reduce_tupleIifEEE10hipError_tPvRmT1_T2_T3_mT4_P12ihipStream_tbEUlT_E1_NS1_11comp_targetILNS1_3genE2ELNS1_11target_archE906ELNS1_3gpuE6ELNS1_3repE0EEENS1_30default_config_static_selectorELNS0_4arch9wavefront6targetE1EEEvSY_,"axG",@progbits,_ZN7rocprim17ROCPRIM_400000_NS6detail17trampoline_kernelINS0_14default_configENS1_22reduce_config_selectorIN6thrust23THRUST_200600_302600_NS5tupleIbffNS6_9null_typeES8_S8_S8_S8_S8_S8_EEEEZNS1_11reduce_implILb1ES3_NS6_11hip_rocprim26transform_input_iterator_tIS9_NS6_12zip_iteratorINS7_INS6_17counting_iteratorIiNS6_11use_defaultESG_SG_EENS6_6detail15normal_iteratorINS6_10device_ptrIfEEEES8_S8_S8_S8_S8_S8_S8_S8_EEEE15transform_tupleIifEEEPS9_S9_12reduce_tupleIifEEE10hipError_tPvRmT1_T2_T3_mT4_P12ihipStream_tbEUlT_E1_NS1_11comp_targetILNS1_3genE2ELNS1_11target_archE906ELNS1_3gpuE6ELNS1_3repE0EEENS1_30default_config_static_selectorELNS0_4arch9wavefront6targetE1EEEvSY_,comdat
	.protected	_ZN7rocprim17ROCPRIM_400000_NS6detail17trampoline_kernelINS0_14default_configENS1_22reduce_config_selectorIN6thrust23THRUST_200600_302600_NS5tupleIbffNS6_9null_typeES8_S8_S8_S8_S8_S8_EEEEZNS1_11reduce_implILb1ES3_NS6_11hip_rocprim26transform_input_iterator_tIS9_NS6_12zip_iteratorINS7_INS6_17counting_iteratorIiNS6_11use_defaultESG_SG_EENS6_6detail15normal_iteratorINS6_10device_ptrIfEEEES8_S8_S8_S8_S8_S8_S8_S8_EEEE15transform_tupleIifEEEPS9_S9_12reduce_tupleIifEEE10hipError_tPvRmT1_T2_T3_mT4_P12ihipStream_tbEUlT_E1_NS1_11comp_targetILNS1_3genE2ELNS1_11target_archE906ELNS1_3gpuE6ELNS1_3repE0EEENS1_30default_config_static_selectorELNS0_4arch9wavefront6targetE1EEEvSY_ ; -- Begin function _ZN7rocprim17ROCPRIM_400000_NS6detail17trampoline_kernelINS0_14default_configENS1_22reduce_config_selectorIN6thrust23THRUST_200600_302600_NS5tupleIbffNS6_9null_typeES8_S8_S8_S8_S8_S8_EEEEZNS1_11reduce_implILb1ES3_NS6_11hip_rocprim26transform_input_iterator_tIS9_NS6_12zip_iteratorINS7_INS6_17counting_iteratorIiNS6_11use_defaultESG_SG_EENS6_6detail15normal_iteratorINS6_10device_ptrIfEEEES8_S8_S8_S8_S8_S8_S8_S8_EEEE15transform_tupleIifEEEPS9_S9_12reduce_tupleIifEEE10hipError_tPvRmT1_T2_T3_mT4_P12ihipStream_tbEUlT_E1_NS1_11comp_targetILNS1_3genE2ELNS1_11target_archE906ELNS1_3gpuE6ELNS1_3repE0EEENS1_30default_config_static_selectorELNS0_4arch9wavefront6targetE1EEEvSY_
	.globl	_ZN7rocprim17ROCPRIM_400000_NS6detail17trampoline_kernelINS0_14default_configENS1_22reduce_config_selectorIN6thrust23THRUST_200600_302600_NS5tupleIbffNS6_9null_typeES8_S8_S8_S8_S8_S8_EEEEZNS1_11reduce_implILb1ES3_NS6_11hip_rocprim26transform_input_iterator_tIS9_NS6_12zip_iteratorINS7_INS6_17counting_iteratorIiNS6_11use_defaultESG_SG_EENS6_6detail15normal_iteratorINS6_10device_ptrIfEEEES8_S8_S8_S8_S8_S8_S8_S8_EEEE15transform_tupleIifEEEPS9_S9_12reduce_tupleIifEEE10hipError_tPvRmT1_T2_T3_mT4_P12ihipStream_tbEUlT_E1_NS1_11comp_targetILNS1_3genE2ELNS1_11target_archE906ELNS1_3gpuE6ELNS1_3repE0EEENS1_30default_config_static_selectorELNS0_4arch9wavefront6targetE1EEEvSY_
	.p2align	8
	.type	_ZN7rocprim17ROCPRIM_400000_NS6detail17trampoline_kernelINS0_14default_configENS1_22reduce_config_selectorIN6thrust23THRUST_200600_302600_NS5tupleIbffNS6_9null_typeES8_S8_S8_S8_S8_S8_EEEEZNS1_11reduce_implILb1ES3_NS6_11hip_rocprim26transform_input_iterator_tIS9_NS6_12zip_iteratorINS7_INS6_17counting_iteratorIiNS6_11use_defaultESG_SG_EENS6_6detail15normal_iteratorINS6_10device_ptrIfEEEES8_S8_S8_S8_S8_S8_S8_S8_EEEE15transform_tupleIifEEEPS9_S9_12reduce_tupleIifEEE10hipError_tPvRmT1_T2_T3_mT4_P12ihipStream_tbEUlT_E1_NS1_11comp_targetILNS1_3genE2ELNS1_11target_archE906ELNS1_3gpuE6ELNS1_3repE0EEENS1_30default_config_static_selectorELNS0_4arch9wavefront6targetE1EEEvSY_,@function
_ZN7rocprim17ROCPRIM_400000_NS6detail17trampoline_kernelINS0_14default_configENS1_22reduce_config_selectorIN6thrust23THRUST_200600_302600_NS5tupleIbffNS6_9null_typeES8_S8_S8_S8_S8_S8_EEEEZNS1_11reduce_implILb1ES3_NS6_11hip_rocprim26transform_input_iterator_tIS9_NS6_12zip_iteratorINS7_INS6_17counting_iteratorIiNS6_11use_defaultESG_SG_EENS6_6detail15normal_iteratorINS6_10device_ptrIfEEEES8_S8_S8_S8_S8_S8_S8_S8_EEEE15transform_tupleIifEEEPS9_S9_12reduce_tupleIifEEE10hipError_tPvRmT1_T2_T3_mT4_P12ihipStream_tbEUlT_E1_NS1_11comp_targetILNS1_3genE2ELNS1_11target_archE906ELNS1_3gpuE6ELNS1_3repE0EEENS1_30default_config_static_selectorELNS0_4arch9wavefront6targetE1EEEvSY_: ; @_ZN7rocprim17ROCPRIM_400000_NS6detail17trampoline_kernelINS0_14default_configENS1_22reduce_config_selectorIN6thrust23THRUST_200600_302600_NS5tupleIbffNS6_9null_typeES8_S8_S8_S8_S8_S8_EEEEZNS1_11reduce_implILb1ES3_NS6_11hip_rocprim26transform_input_iterator_tIS9_NS6_12zip_iteratorINS7_INS6_17counting_iteratorIiNS6_11use_defaultESG_SG_EENS6_6detail15normal_iteratorINS6_10device_ptrIfEEEES8_S8_S8_S8_S8_S8_S8_S8_EEEE15transform_tupleIifEEEPS9_S9_12reduce_tupleIifEEE10hipError_tPvRmT1_T2_T3_mT4_P12ihipStream_tbEUlT_E1_NS1_11comp_targetILNS1_3genE2ELNS1_11target_archE906ELNS1_3gpuE6ELNS1_3repE0EEENS1_30default_config_static_selectorELNS0_4arch9wavefront6targetE1EEEvSY_
; %bb.0:
	s_load_dwordx2 s[44:45], s[4:5], 0x4
	s_load_dwordx8 s[36:43], s[4:5], 0x10
	s_load_dword s33, s[4:5], 0x30
	s_load_dwordx2 s[34:35], s[4:5], 0x34
	s_waitcnt lgkmcnt(0)
	s_cmp_lt_i32 s44, 4
	s_cbranch_scc1 .LBB32_142
; %bb.1:
	s_cmp_gt_i32 s44, 7
	s_cbranch_scc0 .LBB32_143
; %bb.2:
	s_cmp_gt_i32 s44, 15
	s_cbranch_scc0 .LBB32_144
; %bb.3:
	s_cmp_eq_u32 s44, 16
	s_mov_b64 s[46:47], 0
	s_cbranch_scc0 .LBB32_145
; %bb.4:
	s_mov_b32 s7, 0
	s_lshl_b32 s4, s6, 11
	s_mov_b32 s5, s7
	s_lshr_b64 s[0:1], s[40:41], 11
	s_add_i32 s50, s45, s4
	s_lshl_b64 s[2:3], s[4:5], 2
	s_add_u32 s30, s36, s2
	s_addc_u32 s31, s37, s3
	s_cmp_lg_u64 s[0:1], s[6:7]
	s_cbranch_scc0 .LBB32_238
; %bb.5:
	v_lshlrev_b32_e32 v2, 2, v0
	v_mov_b32_e32 v1, s31
	v_add_co_u32_e32 v3, vcc, s30, v2
	v_addc_co_u32_e32 v4, vcc, 0, v1, vcc
	s_movk_i32 s0, 0x1000
	global_load_dword v5, v2, s[30:31]
	global_load_dword v1, v2, s[30:31] offset:512
	global_load_dword v22, v2, s[30:31] offset:1024
	;; [unrolled: 1-line block ×7, first 2 shown]
	v_add_co_u32_e32 v2, vcc, s0, v3
	v_addc_co_u32_e32 v3, vcc, 0, v4, vcc
	global_load_dword v16, v[2:3], off
	global_load_dword v15, v[2:3], off offset:512
	global_load_dword v14, v[2:3], off offset:1024
	global_load_dword v13, v[2:3], off offset:1536
	global_load_dword v11, v[2:3], off offset:2048
	global_load_dword v9, v[2:3], off offset:2560
	global_load_dword v8, v[2:3], off offset:3072
	global_load_dword v6, v[2:3], off offset:3584
	s_abs_i32 s5, s39
	v_cvt_f32_u32_e32 v2, s5
	s_sub_i32 s0, 0, s5
	v_add_u32_e32 v12, s50, v0
	v_sub_u32_e32 v4, 0, v12
	v_rcp_iflag_f32_e32 v2, v2
	v_max_i32_e32 v4, v12, v4
	v_add_u32_e32 v7, 0x80, v12
	v_sub_u32_e32 v23, 0xffffff80, v12
	v_mul_f32_e32 v2, 0x4f7ffffe, v2
	v_cvt_u32_f32_e32 v2, v2
	v_max_i32_e32 v23, v7, v23
	v_add_u32_e32 v26, 0x180, v12
	v_mul_lo_u32 v3, s0, v2
	v_mul_hi_u32 v3, v2, v3
	v_add_u32_e32 v10, v2, v3
	v_mul_hi_u32 v2, v4, v10
	v_mul_hi_u32 v24, v23, v10
	v_ashrrev_i32_e32 v3, 31, v12
	v_mul_lo_u32 v2, v2, s5
	v_sub_u32_e32 v2, v4, v2
	v_subrev_u32_e32 v4, s5, v2
	v_cmp_le_u32_e32 vcc, s5, v2
	v_cndmask_b32_e32 v2, v2, v4, vcc
	v_subrev_u32_e32 v4, s5, v2
	v_cmp_le_u32_e32 vcc, s5, v2
	v_cndmask_b32_e32 v2, v2, v4, vcc
	v_mul_lo_u32 v4, v24, s5
	v_xor_b32_e32 v2, v2, v3
	v_sub_u32_e32 v2, v2, v3
	v_cmp_le_i32_e32 vcc, s38, v2
	v_sub_u32_e32 v3, v23, v4
	v_subrev_u32_e32 v4, s5, v3
	v_cmp_le_u32_e64 s[0:1], s5, v3
	v_cndmask_b32_e64 v3, v3, v4, s[0:1]
	v_subrev_u32_e32 v4, s5, v3
	v_cmp_le_u32_e64 s[0:1], s5, v3
	v_ashrrev_i32_e32 v2, 31, v7
	v_cndmask_b32_e64 v3, v3, v4, s[0:1]
	v_xor_b32_e32 v3, v3, v2
	v_sub_u32_e32 v2, v3, v2
	v_cmp_gt_i32_e64 s[0:1], s38, v2
	v_cmp_le_i32_e64 s[2:3], s38, v2
	v_add_u32_e32 v7, 0x100, v12
	v_sub_u32_e32 v2, 0xffffff00, v12
	v_max_i32_e32 v23, v7, v2
	v_mad_u64_u32 v[3:4], s[8:9], v23, v10, 0
	v_sub_u32_e32 v2, 0xfffffe80, v12
	v_max_i32_e32 v27, v26, v2
	s_or_b64 s[8:9], vcc, s[2:3]
                                        ; implicit-def: $sgpr2_sgpr3
	s_and_saveexec_b64 s[10:11], s[8:9]
	s_xor_b64 s[8:9], exec, s[10:11]
	s_cbranch_execz .LBB32_9
; %bb.6:
	s_mov_b64 s[2:3], -1
	s_and_saveexec_b64 s[10:11], vcc
	s_cbranch_execz .LBB32_8
; %bb.7:
	s_orn2_b64 s[2:3], s[0:1], exec
	s_waitcnt vmcnt(14)
	v_mov_b32_e32 v5, v1
.LBB32_8:
	s_or_b64 exec, exec, s[10:11]
                                        ; implicit-def: $vgpr1
.LBB32_9:
	s_or_saveexec_b64 s[0:1], s[8:9]
	v_mad_u64_u32 v[2:3], s[8:9], v27, v10, 0
	v_add_u32_e32 v24, 0x200, v12
	v_sub_u32_e32 v25, 0xfffffe00, v12
	v_ashrrev_i32_e32 v2, 31, v7
	s_waitcnt vmcnt(15)
	v_mov_b32_e32 v7, v5
	s_xor_b64 exec, exec, s[0:1]
	s_cbranch_execz .LBB32_11
; %bb.10:
	s_waitcnt vmcnt(14)
	v_cmp_lt_f32_e32 vcc, v1, v5
	v_cndmask_b32_e32 v28, v5, v1, vcc
	v_cmp_lt_f32_e32 vcc, v5, v1
	v_cndmask_b32_e32 v7, v5, v1, vcc
	s_or_b64 s[2:3], s[2:3], exec
	v_mov_b32_e32 v5, v28
.LBB32_11:
	s_or_b64 exec, exec, s[0:1]
	s_waitcnt vmcnt(14)
	v_mul_lo_u32 v1, v4, s5
	v_max_i32_e32 v25, v24, v25
	s_mov_b64 s[0:1], -1
	v_sub_u32_e32 v1, v23, v1
	v_subrev_u32_e32 v4, s5, v1
	v_cmp_le_u32_e32 vcc, s5, v1
	v_cndmask_b32_e32 v1, v1, v4, vcc
	v_subrev_u32_e32 v4, s5, v1
	v_cmp_le_u32_e32 vcc, s5, v1
	v_cndmask_b32_e32 v1, v1, v4, vcc
	v_xor_b32_e32 v1, v1, v2
	v_sub_u32_e32 v1, v1, v2
	v_cmp_gt_i32_e32 vcc, s38, v1
	s_and_b64 s[8:9], s[2:3], vcc
	s_xor_b64 s[8:9], s[8:9], -1
	s_and_saveexec_b64 s[10:11], s[8:9]
	s_xor_b64 s[8:9], exec, s[10:11]
	s_cbranch_execz .LBB32_15
; %bb.12:
	s_xor_b64 s[10:11], s[2:3], -1
	s_and_saveexec_b64 s[2:3], s[10:11]
	s_cbranch_execz .LBB32_14
; %bb.13:
	s_orn2_b64 s[0:1], vcc, exec
	s_waitcnt vmcnt(13)
	v_mov_b32_e32 v7, v22
	v_mov_b32_e32 v5, v22
.LBB32_14:
	s_or_b64 exec, exec, s[2:3]
                                        ; implicit-def: $vgpr22
.LBB32_15:
	s_or_saveexec_b64 s[2:3], s[8:9]
	v_mad_u64_u32 v[1:2], s[8:9], v25, v10, 0
	v_add_u32_e32 v23, 0x280, v12
	v_sub_u32_e32 v4, 0xfffffd80, v12
	v_ashrrev_i32_e32 v1, 31, v26
	s_xor_b64 exec, exec, s[2:3]
	s_cbranch_execz .LBB32_17
; %bb.16:
	s_waitcnt vmcnt(13)
	v_cmp_lt_f32_e32 vcc, v22, v5
	v_cndmask_b32_e32 v5, v5, v22, vcc
	v_cmp_lt_f32_e32 vcc, v7, v22
	v_cndmask_b32_e32 v7, v7, v22, vcc
	s_or_b64 s[0:1], s[0:1], exec
.LBB32_17:
	s_or_b64 exec, exec, s[2:3]
	v_mul_lo_u32 v3, v3, s5
	v_max_i32_e32 v26, v23, v4
	s_mov_b64 s[2:3], -1
	v_sub_u32_e32 v3, v27, v3
	v_subrev_u32_e32 v4, s5, v3
	v_cmp_le_u32_e32 vcc, s5, v3
	v_cndmask_b32_e32 v3, v3, v4, vcc
	v_subrev_u32_e32 v4, s5, v3
	v_cmp_le_u32_e32 vcc, s5, v3
	v_cndmask_b32_e32 v3, v3, v4, vcc
	v_xor_b32_e32 v3, v3, v1
	v_sub_u32_e32 v1, v3, v1
	v_cmp_gt_i32_e32 vcc, s38, v1
	s_and_b64 s[8:9], s[0:1], vcc
	s_xor_b64 s[8:9], s[8:9], -1
	s_and_saveexec_b64 s[10:11], s[8:9]
	s_xor_b64 s[8:9], exec, s[10:11]
	s_cbranch_execz .LBB32_21
; %bb.18:
	s_xor_b64 s[10:11], s[0:1], -1
	s_and_saveexec_b64 s[0:1], s[10:11]
	s_cbranch_execz .LBB32_20
; %bb.19:
	s_orn2_b64 s[2:3], vcc, exec
	s_waitcnt vmcnt(12)
	v_mov_b32_e32 v7, v21
	v_mov_b32_e32 v5, v21
.LBB32_20:
	s_or_b64 exec, exec, s[0:1]
                                        ; implicit-def: $vgpr21
.LBB32_21:
	s_or_saveexec_b64 s[0:1], s[8:9]
	v_mad_u64_u32 v[3:4], s[8:9], v26, v10, 0
	s_waitcnt vmcnt(13)
	v_add_u32_e32 v22, 0x300, v12
	v_sub_u32_e32 v3, 0xfffffd00, v12
	v_ashrrev_i32_e32 v1, 31, v24
	s_xor_b64 exec, exec, s[0:1]
	s_cbranch_execz .LBB32_23
; %bb.22:
	s_waitcnt vmcnt(12)
	v_cmp_lt_f32_e32 vcc, v21, v5
	v_cndmask_b32_e32 v5, v5, v21, vcc
	v_cmp_lt_f32_e32 vcc, v7, v21
	v_cndmask_b32_e32 v7, v7, v21, vcc
	s_or_b64 s[2:3], s[2:3], exec
.LBB32_23:
	s_or_b64 exec, exec, s[0:1]
	v_mul_lo_u32 v2, v2, s5
	v_max_i32_e32 v24, v22, v3
	s_mov_b64 s[0:1], -1
	v_sub_u32_e32 v2, v25, v2
	v_subrev_u32_e32 v3, s5, v2
	v_cmp_le_u32_e32 vcc, s5, v2
	v_cndmask_b32_e32 v2, v2, v3, vcc
	v_subrev_u32_e32 v3, s5, v2
	v_cmp_le_u32_e32 vcc, s5, v2
	v_cndmask_b32_e32 v2, v2, v3, vcc
	v_xor_b32_e32 v2, v2, v1
	v_sub_u32_e32 v1, v2, v1
	v_cmp_gt_i32_e32 vcc, s38, v1
	s_and_b64 s[8:9], s[2:3], vcc
	s_xor_b64 s[8:9], s[8:9], -1
	s_and_saveexec_b64 s[10:11], s[8:9]
	s_xor_b64 s[8:9], exec, s[10:11]
	s_cbranch_execz .LBB32_27
; %bb.24:
	s_xor_b64 s[10:11], s[2:3], -1
	s_and_saveexec_b64 s[2:3], s[10:11]
	s_cbranch_execz .LBB32_26
; %bb.25:
	s_orn2_b64 s[0:1], vcc, exec
	s_waitcnt vmcnt(11)
	v_mov_b32_e32 v7, v20
	v_mov_b32_e32 v5, v20
.LBB32_26:
	s_or_b64 exec, exec, s[2:3]
                                        ; implicit-def: $vgpr20
.LBB32_27:
	s_or_saveexec_b64 s[2:3], s[8:9]
	v_mad_u64_u32 v[1:2], s[8:9], v24, v10, 0
	s_waitcnt vmcnt(12)
	v_add_u32_e32 v21, 0x380, v12
	v_sub_u32_e32 v3, 0xfffffc80, v12
	v_ashrrev_i32_e32 v1, 31, v23
	s_xor_b64 exec, exec, s[2:3]
	s_cbranch_execz .LBB32_29
; %bb.28:
	s_waitcnt vmcnt(11)
	v_cmp_lt_f32_e32 vcc, v20, v5
	v_cndmask_b32_e32 v5, v5, v20, vcc
	v_cmp_lt_f32_e32 vcc, v7, v20
	v_cndmask_b32_e32 v7, v7, v20, vcc
	s_or_b64 s[0:1], s[0:1], exec
.LBB32_29:
	s_or_b64 exec, exec, s[2:3]
	v_mul_lo_u32 v4, v4, s5
	v_max_i32_e32 v23, v21, v3
	s_mov_b64 s[2:3], -1
	v_sub_u32_e32 v3, v26, v4
	v_subrev_u32_e32 v4, s5, v3
	v_cmp_le_u32_e32 vcc, s5, v3
	v_cndmask_b32_e32 v3, v3, v4, vcc
	v_subrev_u32_e32 v4, s5, v3
	v_cmp_le_u32_e32 vcc, s5, v3
	v_cndmask_b32_e32 v3, v3, v4, vcc
	v_xor_b32_e32 v3, v3, v1
	v_sub_u32_e32 v1, v3, v1
	v_cmp_gt_i32_e32 vcc, s38, v1
	s_and_b64 s[8:9], s[0:1], vcc
	s_xor_b64 s[8:9], s[8:9], -1
	s_and_saveexec_b64 s[10:11], s[8:9]
	s_xor_b64 s[8:9], exec, s[10:11]
	s_cbranch_execz .LBB32_33
; %bb.30:
	s_xor_b64 s[10:11], s[0:1], -1
	s_and_saveexec_b64 s[0:1], s[10:11]
	s_cbranch_execz .LBB32_32
; %bb.31:
	s_orn2_b64 s[2:3], vcc, exec
	s_waitcnt vmcnt(10)
	v_mov_b32_e32 v7, v19
	v_mov_b32_e32 v5, v19
.LBB32_32:
	s_or_b64 exec, exec, s[0:1]
                                        ; implicit-def: $vgpr19
.LBB32_33:
	s_or_saveexec_b64 s[0:1], s[8:9]
	v_mad_u64_u32 v[3:4], s[8:9], v23, v10, 0
	s_waitcnt vmcnt(11)
	v_add_u32_e32 v20, 0x400, v12
	v_sub_u32_e32 v3, 0xfffffc00, v12
	v_ashrrev_i32_e32 v1, 31, v22
	s_xor_b64 exec, exec, s[0:1]
	s_cbranch_execz .LBB32_35
; %bb.34:
	s_waitcnt vmcnt(10)
	v_cmp_lt_f32_e32 vcc, v19, v5
	v_cndmask_b32_e32 v5, v5, v19, vcc
	v_cmp_lt_f32_e32 vcc, v7, v19
	v_cndmask_b32_e32 v7, v7, v19, vcc
	s_or_b64 s[2:3], s[2:3], exec
.LBB32_35:
	s_or_b64 exec, exec, s[0:1]
	v_mul_lo_u32 v2, v2, s5
	v_max_i32_e32 v22, v20, v3
	s_mov_b64 s[0:1], -1
	v_sub_u32_e32 v2, v24, v2
	v_subrev_u32_e32 v3, s5, v2
	v_cmp_le_u32_e32 vcc, s5, v2
	v_cndmask_b32_e32 v2, v2, v3, vcc
	v_subrev_u32_e32 v3, s5, v2
	v_cmp_le_u32_e32 vcc, s5, v2
	v_cndmask_b32_e32 v2, v2, v3, vcc
	v_xor_b32_e32 v2, v2, v1
	v_sub_u32_e32 v1, v2, v1
	v_cmp_gt_i32_e32 vcc, s38, v1
	s_and_b64 s[8:9], s[2:3], vcc
	s_xor_b64 s[8:9], s[8:9], -1
	s_and_saveexec_b64 s[10:11], s[8:9]
	s_xor_b64 s[8:9], exec, s[10:11]
	s_cbranch_execz .LBB32_39
; %bb.36:
	s_xor_b64 s[10:11], s[2:3], -1
	s_and_saveexec_b64 s[2:3], s[10:11]
	s_cbranch_execz .LBB32_38
; %bb.37:
	s_orn2_b64 s[0:1], vcc, exec
	s_waitcnt vmcnt(9)
	v_mov_b32_e32 v7, v18
	v_mov_b32_e32 v5, v18
.LBB32_38:
	s_or_b64 exec, exec, s[2:3]
                                        ; implicit-def: $vgpr18
.LBB32_39:
	s_or_saveexec_b64 s[2:3], s[8:9]
	v_mad_u64_u32 v[1:2], s[8:9], v22, v10, 0
	s_waitcnt vmcnt(10)
	v_add_u32_e32 v19, 0x480, v12
	v_sub_u32_e32 v3, 0xfffffb80, v12
	v_ashrrev_i32_e32 v1, 31, v21
	s_xor_b64 exec, exec, s[2:3]
	s_cbranch_execz .LBB32_41
; %bb.40:
	s_waitcnt vmcnt(9)
	v_cmp_lt_f32_e32 vcc, v18, v5
	v_cndmask_b32_e32 v5, v5, v18, vcc
	v_cmp_lt_f32_e32 vcc, v7, v18
	v_cndmask_b32_e32 v7, v7, v18, vcc
	s_or_b64 s[0:1], s[0:1], exec
.LBB32_41:
	s_or_b64 exec, exec, s[2:3]
	v_mul_lo_u32 v4, v4, s5
	v_max_i32_e32 v21, v19, v3
	s_mov_b64 s[2:3], -1
	v_sub_u32_e32 v3, v23, v4
	v_subrev_u32_e32 v4, s5, v3
	v_cmp_le_u32_e32 vcc, s5, v3
	v_cndmask_b32_e32 v3, v3, v4, vcc
	v_subrev_u32_e32 v4, s5, v3
	v_cmp_le_u32_e32 vcc, s5, v3
	v_cndmask_b32_e32 v3, v3, v4, vcc
	v_xor_b32_e32 v3, v3, v1
	v_sub_u32_e32 v1, v3, v1
	v_cmp_gt_i32_e32 vcc, s38, v1
	s_and_b64 s[8:9], s[0:1], vcc
	s_xor_b64 s[8:9], s[8:9], -1
	s_and_saveexec_b64 s[10:11], s[8:9]
	s_xor_b64 s[8:9], exec, s[10:11]
	s_cbranch_execz .LBB32_45
; %bb.42:
	s_xor_b64 s[10:11], s[0:1], -1
	s_and_saveexec_b64 s[0:1], s[10:11]
	s_cbranch_execz .LBB32_44
; %bb.43:
	s_orn2_b64 s[2:3], vcc, exec
	s_waitcnt vmcnt(8)
	v_mov_b32_e32 v7, v17
	v_mov_b32_e32 v5, v17
.LBB32_44:
	s_or_b64 exec, exec, s[0:1]
                                        ; implicit-def: $vgpr17
.LBB32_45:
	s_or_saveexec_b64 s[0:1], s[8:9]
	v_mad_u64_u32 v[3:4], s[8:9], v21, v10, 0
	s_waitcnt vmcnt(9)
	v_add_u32_e32 v18, 0x500, v12
	v_sub_u32_e32 v3, 0xfffffb00, v12
	v_ashrrev_i32_e32 v1, 31, v20
	s_xor_b64 exec, exec, s[0:1]
	s_cbranch_execz .LBB32_47
; %bb.46:
	s_waitcnt vmcnt(8)
	v_cmp_lt_f32_e32 vcc, v17, v5
	v_cndmask_b32_e32 v5, v5, v17, vcc
	v_cmp_lt_f32_e32 vcc, v7, v17
	v_cndmask_b32_e32 v7, v7, v17, vcc
	s_or_b64 s[2:3], s[2:3], exec
.LBB32_47:
	s_or_b64 exec, exec, s[0:1]
	v_mul_lo_u32 v2, v2, s5
	v_max_i32_e32 v20, v18, v3
	s_mov_b64 s[0:1], -1
	v_sub_u32_e32 v2, v22, v2
	v_subrev_u32_e32 v3, s5, v2
	v_cmp_le_u32_e32 vcc, s5, v2
	v_cndmask_b32_e32 v2, v2, v3, vcc
	v_subrev_u32_e32 v3, s5, v2
	v_cmp_le_u32_e32 vcc, s5, v2
	v_cndmask_b32_e32 v2, v2, v3, vcc
	v_xor_b32_e32 v2, v2, v1
	v_sub_u32_e32 v1, v2, v1
	v_cmp_gt_i32_e32 vcc, s38, v1
	s_and_b64 s[8:9], s[2:3], vcc
	s_xor_b64 s[8:9], s[8:9], -1
	s_and_saveexec_b64 s[10:11], s[8:9]
	s_xor_b64 s[8:9], exec, s[10:11]
	s_cbranch_execz .LBB32_51
; %bb.48:
	s_xor_b64 s[10:11], s[2:3], -1
	s_and_saveexec_b64 s[2:3], s[10:11]
	s_cbranch_execz .LBB32_50
; %bb.49:
	s_orn2_b64 s[0:1], vcc, exec
	s_waitcnt vmcnt(7)
	v_mov_b32_e32 v7, v16
	v_mov_b32_e32 v5, v16
.LBB32_50:
	s_or_b64 exec, exec, s[2:3]
                                        ; implicit-def: $vgpr16
.LBB32_51:
	s_or_saveexec_b64 s[2:3], s[8:9]
	v_mad_u64_u32 v[1:2], s[8:9], v20, v10, 0
	s_waitcnt vmcnt(8)
	v_add_u32_e32 v17, 0x580, v12
	v_sub_u32_e32 v3, 0xfffffa80, v12
	v_ashrrev_i32_e32 v1, 31, v19
	s_xor_b64 exec, exec, s[2:3]
	s_cbranch_execz .LBB32_53
; %bb.52:
	s_waitcnt vmcnt(7)
	v_cmp_lt_f32_e32 vcc, v16, v5
	v_cndmask_b32_e32 v5, v5, v16, vcc
	v_cmp_lt_f32_e32 vcc, v7, v16
	v_cndmask_b32_e32 v7, v7, v16, vcc
	s_or_b64 s[0:1], s[0:1], exec
.LBB32_53:
	s_or_b64 exec, exec, s[2:3]
	v_mul_lo_u32 v4, v4, s5
	v_max_i32_e32 v19, v17, v3
	s_mov_b64 s[2:3], -1
	v_sub_u32_e32 v3, v21, v4
	v_subrev_u32_e32 v4, s5, v3
	v_cmp_le_u32_e32 vcc, s5, v3
	v_cndmask_b32_e32 v3, v3, v4, vcc
	v_subrev_u32_e32 v4, s5, v3
	v_cmp_le_u32_e32 vcc, s5, v3
	v_cndmask_b32_e32 v3, v3, v4, vcc
	v_xor_b32_e32 v3, v3, v1
	v_sub_u32_e32 v1, v3, v1
	v_cmp_gt_i32_e32 vcc, s38, v1
	s_and_b64 s[8:9], s[0:1], vcc
	s_xor_b64 s[8:9], s[8:9], -1
	s_and_saveexec_b64 s[10:11], s[8:9]
	s_xor_b64 s[8:9], exec, s[10:11]
	s_cbranch_execz .LBB32_57
; %bb.54:
	s_xor_b64 s[10:11], s[0:1], -1
	s_and_saveexec_b64 s[0:1], s[10:11]
	s_cbranch_execz .LBB32_56
; %bb.55:
	s_orn2_b64 s[2:3], vcc, exec
	s_waitcnt vmcnt(6)
	v_mov_b32_e32 v7, v15
	v_mov_b32_e32 v5, v15
.LBB32_56:
	s_or_b64 exec, exec, s[0:1]
                                        ; implicit-def: $vgpr15
.LBB32_57:
	s_or_saveexec_b64 s[0:1], s[8:9]
	v_mad_u64_u32 v[3:4], s[8:9], v19, v10, 0
	s_waitcnt vmcnt(7)
	v_add_u32_e32 v16, 0x600, v12
	v_sub_u32_e32 v3, 0xfffffa00, v12
	v_ashrrev_i32_e32 v1, 31, v18
	s_xor_b64 exec, exec, s[0:1]
	s_cbranch_execz .LBB32_59
; %bb.58:
	s_waitcnt vmcnt(6)
	v_cmp_lt_f32_e32 vcc, v15, v5
	v_cndmask_b32_e32 v5, v5, v15, vcc
	v_cmp_lt_f32_e32 vcc, v7, v15
	v_cndmask_b32_e32 v7, v7, v15, vcc
	s_or_b64 s[2:3], s[2:3], exec
.LBB32_59:
	s_or_b64 exec, exec, s[0:1]
	v_mul_lo_u32 v2, v2, s5
	v_max_i32_e32 v18, v16, v3
	s_mov_b64 s[0:1], -1
	v_sub_u32_e32 v2, v20, v2
	v_subrev_u32_e32 v3, s5, v2
	v_cmp_le_u32_e32 vcc, s5, v2
	v_cndmask_b32_e32 v2, v2, v3, vcc
	v_subrev_u32_e32 v3, s5, v2
	v_cmp_le_u32_e32 vcc, s5, v2
	v_cndmask_b32_e32 v2, v2, v3, vcc
	v_xor_b32_e32 v2, v2, v1
	v_sub_u32_e32 v1, v2, v1
	v_cmp_gt_i32_e32 vcc, s38, v1
	s_and_b64 s[8:9], s[2:3], vcc
	s_xor_b64 s[8:9], s[8:9], -1
	s_and_saveexec_b64 s[10:11], s[8:9]
	s_xor_b64 s[8:9], exec, s[10:11]
	s_cbranch_execz .LBB32_63
; %bb.60:
	s_xor_b64 s[10:11], s[2:3], -1
	s_and_saveexec_b64 s[2:3], s[10:11]
	s_cbranch_execz .LBB32_62
; %bb.61:
	s_orn2_b64 s[0:1], vcc, exec
	s_waitcnt vmcnt(5)
	v_mov_b32_e32 v7, v14
	v_mov_b32_e32 v5, v14
.LBB32_62:
	s_or_b64 exec, exec, s[2:3]
                                        ; implicit-def: $vgpr14
.LBB32_63:
	s_or_saveexec_b64 s[2:3], s[8:9]
	v_mad_u64_u32 v[1:2], s[8:9], v18, v10, 0
	s_waitcnt vmcnt(6)
	v_add_u32_e32 v15, 0x680, v12
	v_sub_u32_e32 v3, 0xfffff980, v12
	v_ashrrev_i32_e32 v1, 31, v17
	s_xor_b64 exec, exec, s[2:3]
	s_cbranch_execz .LBB32_65
; %bb.64:
	s_waitcnt vmcnt(5)
	v_cmp_lt_f32_e32 vcc, v14, v5
	v_cndmask_b32_e32 v5, v5, v14, vcc
	v_cmp_lt_f32_e32 vcc, v7, v14
	v_cndmask_b32_e32 v7, v7, v14, vcc
	s_or_b64 s[0:1], s[0:1], exec
.LBB32_65:
	s_or_b64 exec, exec, s[2:3]
	v_mul_lo_u32 v4, v4, s5
	v_max_i32_e32 v17, v15, v3
	s_mov_b64 s[2:3], -1
	v_sub_u32_e32 v3, v19, v4
	v_subrev_u32_e32 v4, s5, v3
	v_cmp_le_u32_e32 vcc, s5, v3
	v_cndmask_b32_e32 v3, v3, v4, vcc
	v_subrev_u32_e32 v4, s5, v3
	v_cmp_le_u32_e32 vcc, s5, v3
	v_cndmask_b32_e32 v3, v3, v4, vcc
	v_xor_b32_e32 v3, v3, v1
	v_sub_u32_e32 v1, v3, v1
	v_cmp_gt_i32_e32 vcc, s38, v1
	s_and_b64 s[8:9], s[0:1], vcc
	s_xor_b64 s[8:9], s[8:9], -1
	s_and_saveexec_b64 s[10:11], s[8:9]
	s_xor_b64 s[8:9], exec, s[10:11]
	s_cbranch_execz .LBB32_69
; %bb.66:
	s_xor_b64 s[10:11], s[0:1], -1
	s_and_saveexec_b64 s[0:1], s[10:11]
	s_cbranch_execz .LBB32_68
; %bb.67:
	s_orn2_b64 s[2:3], vcc, exec
	s_waitcnt vmcnt(4)
	v_mov_b32_e32 v7, v13
	v_mov_b32_e32 v5, v13
.LBB32_68:
	s_or_b64 exec, exec, s[0:1]
                                        ; implicit-def: $vgpr13
.LBB32_69:
	s_or_saveexec_b64 s[0:1], s[8:9]
	v_mad_u64_u32 v[3:4], s[8:9], v17, v10, 0
	s_waitcnt vmcnt(5)
	v_add_u32_e32 v14, 0x700, v12
	v_sub_u32_e32 v3, 0xfffff900, v12
	v_ashrrev_i32_e32 v1, 31, v16
	s_xor_b64 exec, exec, s[0:1]
	s_cbranch_execz .LBB32_71
; %bb.70:
	s_waitcnt vmcnt(4)
	v_cmp_lt_f32_e32 vcc, v13, v5
	v_cndmask_b32_e32 v5, v5, v13, vcc
	v_cmp_lt_f32_e32 vcc, v7, v13
	v_cndmask_b32_e32 v7, v7, v13, vcc
	s_or_b64 s[2:3], s[2:3], exec
.LBB32_71:
	s_or_b64 exec, exec, s[0:1]
	v_mul_lo_u32 v2, v2, s5
	v_max_i32_e32 v16, v14, v3
	s_mov_b64 s[0:1], -1
	v_sub_u32_e32 v2, v18, v2
	v_subrev_u32_e32 v3, s5, v2
	v_cmp_le_u32_e32 vcc, s5, v2
	v_cndmask_b32_e32 v2, v2, v3, vcc
	v_subrev_u32_e32 v3, s5, v2
	v_cmp_le_u32_e32 vcc, s5, v2
	v_cndmask_b32_e32 v2, v2, v3, vcc
	v_xor_b32_e32 v2, v2, v1
	v_sub_u32_e32 v1, v2, v1
	v_cmp_gt_i32_e32 vcc, s38, v1
	s_and_b64 s[8:9], s[2:3], vcc
	s_xor_b64 s[8:9], s[8:9], -1
	s_and_saveexec_b64 s[10:11], s[8:9]
	s_xor_b64 s[8:9], exec, s[10:11]
	s_cbranch_execz .LBB32_75
; %bb.72:
	s_xor_b64 s[10:11], s[2:3], -1
	s_and_saveexec_b64 s[2:3], s[10:11]
	s_cbranch_execz .LBB32_74
; %bb.73:
	s_orn2_b64 s[0:1], vcc, exec
	s_waitcnt vmcnt(3)
	v_mov_b32_e32 v7, v11
	v_mov_b32_e32 v5, v11
.LBB32_74:
	s_or_b64 exec, exec, s[2:3]
                                        ; implicit-def: $vgpr11
.LBB32_75:
	s_or_saveexec_b64 s[2:3], s[8:9]
	v_mad_u64_u32 v[1:2], s[8:9], v16, v10, 0
	s_waitcnt vmcnt(4)
	v_add_u32_e32 v13, 0x780, v12
	v_sub_u32_e32 v1, 0xfffff880, v12
	v_ashrrev_i32_e32 v3, 31, v15
	s_xor_b64 exec, exec, s[2:3]
	s_cbranch_execz .LBB32_77
; %bb.76:
	s_waitcnt vmcnt(3)
	v_cmp_lt_f32_e32 vcc, v11, v5
	v_cndmask_b32_e32 v5, v5, v11, vcc
	v_cmp_lt_f32_e32 vcc, v7, v11
	v_cndmask_b32_e32 v7, v7, v11, vcc
	s_or_b64 s[0:1], s[0:1], exec
.LBB32_77:
	s_or_b64 exec, exec, s[2:3]
	v_mul_lo_u32 v4, v4, s5
	v_max_i32_e32 v1, v13, v1
	s_mov_b64 s[2:3], -1
	v_sub_u32_e32 v4, v17, v4
	s_waitcnt vmcnt(3)
	v_subrev_u32_e32 v11, s5, v4
	v_cmp_le_u32_e32 vcc, s5, v4
	v_cndmask_b32_e32 v4, v4, v11, vcc
	v_subrev_u32_e32 v11, s5, v4
	v_cmp_le_u32_e32 vcc, s5, v4
	v_cndmask_b32_e32 v4, v4, v11, vcc
	v_xor_b32_e32 v4, v4, v3
	v_sub_u32_e32 v3, v4, v3
	v_cmp_gt_i32_e32 vcc, s38, v3
	s_and_b64 s[8:9], s[0:1], vcc
	s_xor_b64 s[8:9], s[8:9], -1
	s_and_saveexec_b64 s[10:11], s[8:9]
	s_xor_b64 s[8:9], exec, s[10:11]
	s_cbranch_execz .LBB32_81
; %bb.78:
	s_xor_b64 s[10:11], s[0:1], -1
	s_and_saveexec_b64 s[0:1], s[10:11]
	s_cbranch_execz .LBB32_80
; %bb.79:
	s_orn2_b64 s[2:3], vcc, exec
	s_waitcnt vmcnt(2)
	v_mov_b32_e32 v7, v9
	v_mov_b32_e32 v5, v9
.LBB32_80:
	s_or_b64 exec, exec, s[0:1]
                                        ; implicit-def: $vgpr9
.LBB32_81:
	s_or_saveexec_b64 s[0:1], s[8:9]
	v_mad_u64_u32 v[3:4], s[8:9], v1, v10, 0
	v_ashrrev_i32_e32 v3, 31, v14
	s_xor_b64 exec, exec, s[0:1]
	s_cbranch_execz .LBB32_83
; %bb.82:
	s_waitcnt vmcnt(2)
	v_cmp_lt_f32_e32 vcc, v9, v5
	v_cndmask_b32_e32 v5, v5, v9, vcc
	v_cmp_lt_f32_e32 vcc, v7, v9
	v_cndmask_b32_e32 v7, v7, v9, vcc
	s_or_b64 s[2:3], s[2:3], exec
.LBB32_83:
	s_or_b64 exec, exec, s[0:1]
	v_mul_lo_u32 v2, v2, s5
	s_mov_b64 s[0:1], -1
	v_sub_u32_e32 v2, v16, v2
	s_waitcnt vmcnt(2)
	v_subrev_u32_e32 v9, s5, v2
	v_cmp_le_u32_e32 vcc, s5, v2
	v_cndmask_b32_e32 v2, v2, v9, vcc
	v_subrev_u32_e32 v9, s5, v2
	v_cmp_le_u32_e32 vcc, s5, v2
	v_cndmask_b32_e32 v2, v2, v9, vcc
	v_xor_b32_e32 v2, v2, v3
	v_sub_u32_e32 v2, v2, v3
	v_cmp_gt_i32_e32 vcc, s38, v2
	s_and_b64 s[8:9], s[2:3], vcc
	s_xor_b64 s[8:9], s[8:9], -1
	s_and_saveexec_b64 s[10:11], s[8:9]
	s_xor_b64 s[8:9], exec, s[10:11]
	s_cbranch_execz .LBB32_87
; %bb.84:
	s_xor_b64 s[10:11], s[2:3], -1
	s_and_saveexec_b64 s[2:3], s[10:11]
	s_cbranch_execz .LBB32_86
; %bb.85:
	s_orn2_b64 s[0:1], vcc, exec
	s_waitcnt vmcnt(1)
	v_mov_b32_e32 v7, v8
	v_mov_b32_e32 v5, v8
.LBB32_86:
	s_or_b64 exec, exec, s[2:3]
                                        ; implicit-def: $vgpr8
.LBB32_87:
	s_or_saveexec_b64 s[2:3], s[8:9]
	v_ashrrev_i32_e32 v2, 31, v13
	s_xor_b64 exec, exec, s[2:3]
	s_cbranch_execz .LBB32_89
; %bb.88:
	s_waitcnt vmcnt(1)
	v_cmp_lt_f32_e32 vcc, v8, v5
	v_cndmask_b32_e32 v5, v5, v8, vcc
	v_cmp_lt_f32_e32 vcc, v7, v8
	v_cndmask_b32_e32 v7, v7, v8, vcc
	s_or_b64 s[0:1], s[0:1], exec
.LBB32_89:
	s_or_b64 exec, exec, s[2:3]
	v_mul_lo_u32 v3, v4, s5
	v_sub_u32_e32 v1, v1, v3
	v_subrev_u32_e32 v3, s5, v1
	v_cmp_le_u32_e32 vcc, s5, v1
	v_cndmask_b32_e32 v1, v1, v3, vcc
	v_subrev_u32_e32 v3, s5, v1
	v_cmp_le_u32_e32 vcc, s5, v1
	v_cndmask_b32_e32 v1, v1, v3, vcc
	v_xor_b32_e32 v1, v1, v2
	v_sub_u32_e32 v1, v1, v2
	v_cmp_gt_i32_e32 vcc, s38, v1
	s_and_b64 s[2:3], s[0:1], vcc
	s_xor_b64 s[2:3], s[2:3], -1
                                        ; implicit-def: $vgpr3
	s_and_saveexec_b64 s[8:9], s[2:3]
	s_xor_b64 s[2:3], exec, s[8:9]
	s_cbranch_execz .LBB32_93
; %bb.90:
	s_xor_b64 s[8:9], s[0:1], -1
	v_mov_b32_e32 v3, 1
	s_and_saveexec_b64 s[0:1], s[8:9]
	s_cbranch_execz .LBB32_92
; %bb.91:
	v_cndmask_b32_e64 v3, 0, 1, vcc
	s_waitcnt vmcnt(0)
	v_mov_b32_e32 v7, v6
	v_mov_b32_e32 v5, v6
.LBB32_92:
	s_or_b64 exec, exec, s[0:1]
                                        ; implicit-def: $vgpr6
.LBB32_93:
	s_andn2_saveexec_b64 s[0:1], s[2:3]
	s_cbranch_execz .LBB32_95
; %bb.94:
	s_waitcnt vmcnt(0)
	v_cmp_lt_f32_e32 vcc, v6, v5
	v_cndmask_b32_e32 v5, v5, v6, vcc
	v_cmp_lt_f32_e32 vcc, v7, v6
	v_cndmask_b32_e32 v7, v7, v6, vcc
	v_mov_b32_e32 v3, 1
.LBB32_95:
	s_or_b64 exec, exec, s[0:1]
	v_and_b32_e32 v4, 0xff, v3
	v_and_b32_e32 v3, 1, v3
	v_cmp_eq_u32_e64 s[0:1], 1, v3
	s_waitcnt vmcnt(0)
	v_mov_b32_dpp v6, v4 quad_perm:[1,0,3,2] row_mask:0xf bank_mask:0xf bound_ctrl:1
	v_and_b32_e32 v6, 1, v6
	v_cmp_eq_u32_e32 vcc, 1, v6
	s_and_b64 s[0:1], vcc, s[0:1]
	v_mov_b32_dpp v1, v5 quad_perm:[1,0,3,2] row_mask:0xf bank_mask:0xf bound_ctrl:1
	v_mov_b32_dpp v2, v7 quad_perm:[1,0,3,2] row_mask:0xf bank_mask:0xf bound_ctrl:1
	s_xor_b64 s[0:1], s[0:1], -1
                                        ; implicit-def: $vgpr6
	s_and_saveexec_b64 s[2:3], s[0:1]
	s_xor_b64 s[0:1], exec, s[2:3]
	s_cbranch_execz .LBB32_99
; %bb.96:
	s_xor_b64 s[8:9], vcc, -1
	v_mov_b32_e32 v6, 1
	s_and_saveexec_b64 s[2:3], s[8:9]
; %bb.97:
	v_mov_b32_e32 v2, v7
	v_mov_b32_e32 v1, v5
	v_mov_b32_e32 v6, v4
; %bb.98:
	s_or_b64 exec, exec, s[2:3]
                                        ; implicit-def: $vgpr5
                                        ; implicit-def: $vgpr7
.LBB32_99:
	s_andn2_saveexec_b64 s[0:1], s[0:1]
; %bb.100:
	v_cmp_lt_f32_e32 vcc, v5, v1
	v_cndmask_b32_e32 v1, v1, v5, vcc
	v_cmp_gt_f32_e32 vcc, v7, v2
	v_cndmask_b32_e32 v2, v2, v7, vcc
	v_mov_b32_e32 v6, 1
; %bb.101:
	s_or_b64 exec, exec, s[0:1]
	s_nop 0
	v_mov_b32_dpp v5, v6 quad_perm:[2,3,0,1] row_mask:0xf bank_mask:0xf bound_ctrl:1
	v_and_b32_e32 v7, 1, v5
	v_and_b32_e32 v5, v5, v6
	;; [unrolled: 1-line block ×3, first 2 shown]
	v_mov_b32_dpp v3, v1 quad_perm:[2,3,0,1] row_mask:0xf bank_mask:0xf bound_ctrl:1
	v_mov_b32_dpp v4, v2 quad_perm:[2,3,0,1] row_mask:0xf bank_mask:0xf bound_ctrl:1
	v_cmp_ne_u32_e32 vcc, 1, v7
	v_cmp_ne_u32_e64 s[0:1], 1, v5
                                        ; implicit-def: $vgpr7
	s_and_saveexec_b64 s[2:3], s[0:1]
	s_xor_b64 s[0:1], exec, s[2:3]
	s_cbranch_execz .LBB32_105
; %bb.102:
	v_mov_b32_e32 v7, 1
	s_and_saveexec_b64 s[2:3], vcc
; %bb.103:
	v_mov_b32_e32 v4, v2
	v_mov_b32_e32 v3, v1
	;; [unrolled: 1-line block ×3, first 2 shown]
; %bb.104:
	s_or_b64 exec, exec, s[2:3]
                                        ; implicit-def: $vgpr1
                                        ; implicit-def: $vgpr2
.LBB32_105:
	s_andn2_saveexec_b64 s[0:1], s[0:1]
; %bb.106:
	v_cmp_lt_f32_e32 vcc, v1, v3
	v_cndmask_b32_e32 v3, v3, v1, vcc
	v_cmp_gt_f32_e32 vcc, v2, v4
	v_cndmask_b32_e32 v4, v4, v2, vcc
	v_mov_b32_e32 v7, 1
; %bb.107:
	s_or_b64 exec, exec, s[0:1]
	s_nop 0
	v_mov_b32_dpp v2, v7 row_ror:4 row_mask:0xf bank_mask:0xf bound_ctrl:1
	v_and_b32_e32 v6, 1, v2
	v_and_b32_e32 v2, v2, v7
	;; [unrolled: 1-line block ×3, first 2 shown]
	v_mov_b32_dpp v1, v3 row_ror:4 row_mask:0xf bank_mask:0xf bound_ctrl:1
	v_mov_b32_dpp v5, v4 row_ror:4 row_mask:0xf bank_mask:0xf bound_ctrl:1
	v_cmp_ne_u32_e32 vcc, 1, v6
	v_cmp_ne_u32_e64 s[0:1], 1, v2
                                        ; implicit-def: $vgpr6
	s_and_saveexec_b64 s[2:3], s[0:1]
	s_xor_b64 s[0:1], exec, s[2:3]
	s_cbranch_execz .LBB32_111
; %bb.108:
	v_mov_b32_e32 v6, 1
	s_and_saveexec_b64 s[2:3], vcc
; %bb.109:
	v_mov_b32_e32 v5, v4
	v_mov_b32_e32 v1, v3
	;; [unrolled: 1-line block ×3, first 2 shown]
; %bb.110:
	s_or_b64 exec, exec, s[2:3]
                                        ; implicit-def: $vgpr3
                                        ; implicit-def: $vgpr4
.LBB32_111:
	s_andn2_saveexec_b64 s[0:1], s[0:1]
; %bb.112:
	v_cmp_lt_f32_e32 vcc, v3, v1
	v_cndmask_b32_e32 v1, v1, v3, vcc
	v_cmp_gt_f32_e32 vcc, v4, v5
	v_cndmask_b32_e32 v5, v5, v4, vcc
	v_mov_b32_e32 v6, 1
; %bb.113:
	s_or_b64 exec, exec, s[0:1]
	s_nop 0
	v_mov_b32_dpp v4, v6 row_ror:8 row_mask:0xf bank_mask:0xf bound_ctrl:1
	v_and_b32_e32 v7, 1, v4
	v_and_b32_e32 v4, v4, v6
	;; [unrolled: 1-line block ×3, first 2 shown]
	v_mov_b32_dpp v2, v1 row_ror:8 row_mask:0xf bank_mask:0xf bound_ctrl:1
	v_mov_b32_dpp v3, v5 row_ror:8 row_mask:0xf bank_mask:0xf bound_ctrl:1
	v_cmp_ne_u32_e32 vcc, 1, v7
	v_cmp_ne_u32_e64 s[0:1], 1, v4
                                        ; implicit-def: $vgpr7
	s_and_saveexec_b64 s[2:3], s[0:1]
	s_xor_b64 s[0:1], exec, s[2:3]
	s_cbranch_execz .LBB32_117
; %bb.114:
	v_mov_b32_e32 v7, 1
	s_and_saveexec_b64 s[2:3], vcc
; %bb.115:
	v_mov_b32_e32 v3, v5
	v_mov_b32_e32 v2, v1
	;; [unrolled: 1-line block ×3, first 2 shown]
; %bb.116:
	s_or_b64 exec, exec, s[2:3]
                                        ; implicit-def: $vgpr1
                                        ; implicit-def: $vgpr5
.LBB32_117:
	s_andn2_saveexec_b64 s[0:1], s[0:1]
; %bb.118:
	v_cmp_lt_f32_e32 vcc, v1, v2
	v_cndmask_b32_e32 v2, v2, v1, vcc
	v_cmp_gt_f32_e32 vcc, v5, v3
	v_cndmask_b32_e32 v3, v3, v5, vcc
	v_mov_b32_e32 v7, 1
; %bb.119:
	s_or_b64 exec, exec, s[0:1]
	s_nop 0
	v_mov_b32_dpp v5, v7 row_bcast:15 row_mask:0xf bank_mask:0xf bound_ctrl:1
	v_and_b32_e32 v6, 1, v5
	v_and_b32_e32 v5, v5, v7
	;; [unrolled: 1-line block ×3, first 2 shown]
	v_mov_b32_dpp v1, v2 row_bcast:15 row_mask:0xf bank_mask:0xf bound_ctrl:1
	v_mov_b32_dpp v4, v3 row_bcast:15 row_mask:0xf bank_mask:0xf bound_ctrl:1
	v_cmp_ne_u32_e32 vcc, 1, v6
	v_cmp_ne_u32_e64 s[0:1], 1, v5
                                        ; implicit-def: $vgpr5
	s_and_saveexec_b64 s[2:3], s[0:1]
	s_xor_b64 s[0:1], exec, s[2:3]
	s_cbranch_execz .LBB32_123
; %bb.120:
	v_mov_b32_e32 v5, 1
	s_and_saveexec_b64 s[2:3], vcc
; %bb.121:
	v_mov_b32_e32 v4, v3
	v_mov_b32_e32 v1, v2
	v_mov_b32_e32 v5, v7
; %bb.122:
	s_or_b64 exec, exec, s[2:3]
                                        ; implicit-def: $vgpr2
                                        ; implicit-def: $vgpr3
.LBB32_123:
	s_andn2_saveexec_b64 s[0:1], s[0:1]
; %bb.124:
	v_cmp_lt_f32_e32 vcc, v2, v1
	v_cndmask_b32_e32 v1, v1, v2, vcc
	v_cmp_gt_f32_e32 vcc, v3, v4
	v_cndmask_b32_e32 v4, v4, v3, vcc
	v_mov_b32_e32 v5, 1
; %bb.125:
	s_or_b64 exec, exec, s[0:1]
	s_nop 0
	v_mov_b32_dpp v6, v5 row_bcast:31 row_mask:0xf bank_mask:0xf bound_ctrl:1
	v_and_b32_e32 v7, 1, v6
	v_and_b32_e32 v6, v6, v5
	;; [unrolled: 1-line block ×3, first 2 shown]
	v_mov_b32_dpp v3, v1 row_bcast:31 row_mask:0xf bank_mask:0xf bound_ctrl:1
	v_mov_b32_dpp v2, v4 row_bcast:31 row_mask:0xf bank_mask:0xf bound_ctrl:1
	v_cmp_ne_u32_e32 vcc, 1, v7
	v_cmp_ne_u32_e64 s[0:1], 1, v6
                                        ; implicit-def: $vgpr6
	s_and_saveexec_b64 s[2:3], s[0:1]
	s_xor_b64 s[0:1], exec, s[2:3]
	s_cbranch_execz .LBB32_129
; %bb.126:
	v_mov_b32_e32 v6, 1
	s_and_saveexec_b64 s[2:3], vcc
; %bb.127:
	v_mov_b32_e32 v2, v4
	v_mov_b32_e32 v3, v1
	v_mov_b32_e32 v6, v5
; %bb.128:
	s_or_b64 exec, exec, s[2:3]
                                        ; implicit-def: $vgpr1
                                        ; implicit-def: $vgpr4
.LBB32_129:
	s_andn2_saveexec_b64 s[0:1], s[0:1]
; %bb.130:
	v_cmp_lt_f32_e32 vcc, v1, v3
	v_cndmask_b32_e32 v3, v3, v1, vcc
	v_cmp_gt_f32_e32 vcc, v4, v2
	v_cndmask_b32_e32 v2, v2, v4, vcc
	v_mov_b32_e32 v6, 1
; %bb.131:
	s_or_b64 exec, exec, s[0:1]
	v_mbcnt_lo_u32_b32 v1, -1, 0
	v_mbcnt_hi_u32_b32 v4, -1, v1
	v_lshlrev_b32_e32 v8, 2, v4
	v_or_b32_e32 v7, 0xfc, v8
	ds_bpermute_b32 v5, v7, v6
	ds_bpermute_b32 v1, v7, v3
	;; [unrolled: 1-line block ×3, first 2 shown]
	v_cmp_eq_u32_e32 vcc, 0, v4
	s_and_saveexec_b64 s[0:1], vcc
	s_cbranch_execz .LBB32_133
; %bb.132:
	v_lshrrev_b32_e32 v3, 6, v0
	v_mul_u32_u24_e32 v3, 12, v3
	s_waitcnt lgkmcnt(2)
	ds_write_b8 v3, v5 offset:32
	s_waitcnt lgkmcnt(1)
	ds_write2_b32 v3, v1, v2 offset0:9 offset1:10
.LBB32_133:
	s_or_b64 exec, exec, s[0:1]
	v_cmp_gt_u32_e32 vcc, 64, v0
	s_waitcnt lgkmcnt(0)
	s_barrier
	s_and_saveexec_b64 s[0:1], vcc
	s_cbranch_execz .LBB32_141
; %bb.134:
	v_and_b32_e32 v1, 1, v4
	v_mul_u32_u24_e32 v1, 12, v1
	ds_read_u8 v7, v1 offset:32
	ds_read2_b32 v[3:4], v1 offset0:9 offset1:10
	v_or_b32_e32 v2, 4, v8
	s_waitcnt lgkmcnt(1)
	v_and_b32_e32 v1, 0xff, v7
	ds_bpermute_b32 v6, v2, v1
	s_waitcnt lgkmcnt(1)
	ds_bpermute_b32 v1, v2, v3
	ds_bpermute_b32 v2, v2, v4
	s_waitcnt lgkmcnt(2)
	v_and_b32_e32 v5, v7, v6
	v_and_b32_e32 v5, 1, v5
	v_cmp_eq_u32_e32 vcc, 1, v5
	s_and_saveexec_b64 s[2:3], vcc
	s_xor_b64 s[2:3], exec, s[2:3]
	s_cbranch_execz .LBB32_136
; %bb.135:
	s_waitcnt lgkmcnt(1)
	v_cmp_gt_f32_e32 vcc, v3, v1
	v_cndmask_b32_e32 v1, v3, v1, vcc
	s_waitcnt lgkmcnt(0)
	v_cmp_lt_f32_e32 vcc, v4, v2
	v_cndmask_b32_e32 v2, v4, v2, vcc
                                        ; implicit-def: $vgpr4
                                        ; implicit-def: $vgpr6
                                        ; implicit-def: $vgpr7
.LBB32_136:
	s_or_saveexec_b64 s[2:3], s[2:3]
	v_mov_b32_e32 v5, 1
	s_xor_b64 exec, exec, s[2:3]
	s_cbranch_execz .LBB32_140
; %bb.137:
	v_and_b32_e32 v5, 1, v7
	v_cmp_eq_u32_e32 vcc, 1, v5
	s_and_saveexec_b64 s[8:9], vcc
	s_cbranch_execz .LBB32_139
; %bb.138:
	v_mov_b32_e32 v6, 1
	s_waitcnt lgkmcnt(0)
	v_mov_b32_e32 v2, v4
	v_mov_b32_e32 v1, v3
.LBB32_139:
	s_or_b64 exec, exec, s[8:9]
	v_mov_b32_e32 v5, v6
.LBB32_140:
	s_or_b64 exec, exec, s[2:3]
.LBB32_141:
	s_or_b64 exec, exec, s[0:1]
	s_mov_b64 s[0:1], 0
	s_branch .LBB32_239
.LBB32_142:
	s_mov_b64 s[16:17], 0
                                        ; implicit-def: $vgpr4
                                        ; implicit-def: $vgpr6
	s_cbranch_execnz .LBB32_779
	s_branch .LBB32_970
.LBB32_143:
	s_mov_b64 s[16:17], 0
                                        ; implicit-def: $vgpr4
                                        ; implicit-def: $vgpr6
	s_cbranch_execnz .LBB32_607
	s_branch .LBB32_675
.LBB32_144:
	s_mov_b64 s[46:47], -1
.LBB32_145:
	s_mov_b64 s[16:17], 0
                                        ; implicit-def: $vgpr4
                                        ; implicit-def: $vgpr6
	s_and_b64 vcc, exec, s[46:47]
	s_cbranch_vccz .LBB32_486
.LBB32_146:
	s_cmp_eq_u32 s44, 8
	s_cbranch_scc0 .LBB32_237
; %bb.147:
	s_mov_b32 s7, 0
	s_lshl_b32 s4, s6, 10
	s_mov_b32 s5, s7
	s_lshr_b64 s[0:1], s[40:41], 10
	s_add_i32 s20, s45, s4
	s_lshl_b64 s[2:3], s[4:5], 2
	s_add_u32 s14, s36, s2
	s_addc_u32 s15, s37, s3
	s_cmp_lg_u64 s[0:1], s[6:7]
	s_cbranch_scc0 .LBB32_286
; %bb.148:
	s_waitcnt lgkmcnt(0)
	v_lshlrev_b32_e32 v2, 2, v0
	global_load_dword v5, v2, s[14:15]
	global_load_dword v1, v2, s[14:15] offset:512
	global_load_dword v14, v2, s[14:15] offset:1024
	;; [unrolled: 1-line block ×7, first 2 shown]
	s_abs_i32 s5, s39
	v_cvt_f32_u32_e32 v2, s5
	s_sub_i32 s0, 0, s5
	v_add_u32_e32 v12, s20, v0
	v_sub_u32_e32 v4, 0, v12
	v_rcp_iflag_f32_e32 v2, v2
	v_max_i32_e32 v4, v12, v4
	v_add_u32_e32 v7, 0x80, v12
	v_sub_u32_e32 v15, 0xffffff80, v12
	v_mul_f32_e32 v2, 0x4f7ffffe, v2
	v_cvt_u32_f32_e32 v2, v2
	v_max_i32_e32 v15, v7, v15
	v_add_u32_e32 v18, 0x180, v12
	v_mul_lo_u32 v3, s0, v2
	v_mul_hi_u32 v3, v2, v3
	v_add_u32_e32 v10, v2, v3
	v_mul_hi_u32 v2, v4, v10
	v_mul_hi_u32 v16, v15, v10
	v_ashrrev_i32_e32 v3, 31, v12
	v_mul_lo_u32 v2, v2, s5
	v_sub_u32_e32 v2, v4, v2
	v_subrev_u32_e32 v4, s5, v2
	v_cmp_le_u32_e32 vcc, s5, v2
	v_cndmask_b32_e32 v2, v2, v4, vcc
	v_subrev_u32_e32 v4, s5, v2
	v_cmp_le_u32_e32 vcc, s5, v2
	v_cndmask_b32_e32 v2, v2, v4, vcc
	v_mul_lo_u32 v4, v16, s5
	v_xor_b32_e32 v2, v2, v3
	v_sub_u32_e32 v2, v2, v3
	v_cmp_le_i32_e32 vcc, s38, v2
	v_sub_u32_e32 v3, v15, v4
	v_subrev_u32_e32 v4, s5, v3
	v_cmp_le_u32_e64 s[0:1], s5, v3
	v_cndmask_b32_e64 v3, v3, v4, s[0:1]
	v_subrev_u32_e32 v4, s5, v3
	v_cmp_le_u32_e64 s[0:1], s5, v3
	v_ashrrev_i32_e32 v2, 31, v7
	v_cndmask_b32_e64 v3, v3, v4, s[0:1]
	v_xor_b32_e32 v3, v3, v2
	v_sub_u32_e32 v2, v3, v2
	v_cmp_gt_i32_e64 s[0:1], s38, v2
	v_cmp_le_i32_e64 s[2:3], s38, v2
	v_add_u32_e32 v7, 0x100, v12
	v_sub_u32_e32 v2, 0xffffff00, v12
	v_max_i32_e32 v15, v7, v2
	v_mad_u64_u32 v[3:4], s[8:9], v15, v10, 0
	v_sub_u32_e32 v2, 0xfffffe80, v12
	v_max_i32_e32 v19, v18, v2
	s_or_b64 s[8:9], vcc, s[2:3]
                                        ; implicit-def: $sgpr2_sgpr3
	s_and_saveexec_b64 s[10:11], s[8:9]
	s_xor_b64 s[8:9], exec, s[10:11]
	s_cbranch_execz .LBB32_152
; %bb.149:
	s_mov_b64 s[2:3], -1
	s_and_saveexec_b64 s[10:11], vcc
	s_cbranch_execz .LBB32_151
; %bb.150:
	s_orn2_b64 s[2:3], s[0:1], exec
	s_waitcnt vmcnt(6)
	v_mov_b32_e32 v5, v1
.LBB32_151:
	s_or_b64 exec, exec, s[10:11]
                                        ; implicit-def: $vgpr1
.LBB32_152:
	s_or_saveexec_b64 s[0:1], s[8:9]
	v_mad_u64_u32 v[2:3], s[8:9], v19, v10, 0
	v_add_u32_e32 v16, 0x200, v12
	v_sub_u32_e32 v17, 0xfffffe00, v12
	v_ashrrev_i32_e32 v2, 31, v7
	s_waitcnt vmcnt(7)
	v_mov_b32_e32 v7, v5
	s_xor_b64 exec, exec, s[0:1]
	s_cbranch_execz .LBB32_154
; %bb.153:
	s_waitcnt vmcnt(6)
	v_cmp_lt_f32_e32 vcc, v1, v5
	v_cndmask_b32_e32 v20, v5, v1, vcc
	v_cmp_lt_f32_e32 vcc, v5, v1
	v_cndmask_b32_e32 v7, v5, v1, vcc
	s_or_b64 s[2:3], s[2:3], exec
	v_mov_b32_e32 v5, v20
.LBB32_154:
	s_or_b64 exec, exec, s[0:1]
	s_waitcnt vmcnt(6)
	v_mul_lo_u32 v1, v4, s5
	v_max_i32_e32 v17, v16, v17
	s_mov_b64 s[0:1], -1
	v_sub_u32_e32 v1, v15, v1
	v_subrev_u32_e32 v4, s5, v1
	v_cmp_le_u32_e32 vcc, s5, v1
	v_cndmask_b32_e32 v1, v1, v4, vcc
	v_subrev_u32_e32 v4, s5, v1
	v_cmp_le_u32_e32 vcc, s5, v1
	v_cndmask_b32_e32 v1, v1, v4, vcc
	v_xor_b32_e32 v1, v1, v2
	v_sub_u32_e32 v1, v1, v2
	v_cmp_gt_i32_e32 vcc, s38, v1
	s_and_b64 s[8:9], s[2:3], vcc
	s_xor_b64 s[8:9], s[8:9], -1
	s_and_saveexec_b64 s[10:11], s[8:9]
	s_xor_b64 s[8:9], exec, s[10:11]
	s_cbranch_execz .LBB32_158
; %bb.155:
	s_xor_b64 s[10:11], s[2:3], -1
	s_and_saveexec_b64 s[2:3], s[10:11]
	s_cbranch_execz .LBB32_157
; %bb.156:
	s_orn2_b64 s[0:1], vcc, exec
	s_waitcnt vmcnt(5)
	v_mov_b32_e32 v7, v14
	v_mov_b32_e32 v5, v14
.LBB32_157:
	s_or_b64 exec, exec, s[2:3]
                                        ; implicit-def: $vgpr14
.LBB32_158:
	s_or_saveexec_b64 s[2:3], s[8:9]
	v_mad_u64_u32 v[1:2], s[8:9], v17, v10, 0
	v_add_u32_e32 v15, 0x280, v12
	v_sub_u32_e32 v4, 0xfffffd80, v12
	v_ashrrev_i32_e32 v1, 31, v18
	s_xor_b64 exec, exec, s[2:3]
	s_cbranch_execz .LBB32_160
; %bb.159:
	s_waitcnt vmcnt(5)
	v_cmp_lt_f32_e32 vcc, v14, v5
	v_cndmask_b32_e32 v5, v5, v14, vcc
	v_cmp_lt_f32_e32 vcc, v7, v14
	v_cndmask_b32_e32 v7, v7, v14, vcc
	s_or_b64 s[0:1], s[0:1], exec
.LBB32_160:
	s_or_b64 exec, exec, s[2:3]
	v_mul_lo_u32 v3, v3, s5
	v_max_i32_e32 v18, v15, v4
	s_mov_b64 s[2:3], -1
	v_sub_u32_e32 v3, v19, v3
	v_subrev_u32_e32 v4, s5, v3
	v_cmp_le_u32_e32 vcc, s5, v3
	v_cndmask_b32_e32 v3, v3, v4, vcc
	v_subrev_u32_e32 v4, s5, v3
	v_cmp_le_u32_e32 vcc, s5, v3
	v_cndmask_b32_e32 v3, v3, v4, vcc
	v_xor_b32_e32 v3, v3, v1
	v_sub_u32_e32 v1, v3, v1
	v_cmp_gt_i32_e32 vcc, s38, v1
	s_and_b64 s[8:9], s[0:1], vcc
	s_xor_b64 s[8:9], s[8:9], -1
	s_and_saveexec_b64 s[10:11], s[8:9]
	s_xor_b64 s[8:9], exec, s[10:11]
	s_cbranch_execz .LBB32_164
; %bb.161:
	s_xor_b64 s[10:11], s[0:1], -1
	s_and_saveexec_b64 s[0:1], s[10:11]
	s_cbranch_execz .LBB32_163
; %bb.162:
	s_orn2_b64 s[2:3], vcc, exec
	s_waitcnt vmcnt(4)
	v_mov_b32_e32 v7, v13
	v_mov_b32_e32 v5, v13
.LBB32_163:
	s_or_b64 exec, exec, s[0:1]
                                        ; implicit-def: $vgpr13
.LBB32_164:
	s_or_saveexec_b64 s[0:1], s[8:9]
	v_mad_u64_u32 v[3:4], s[8:9], v18, v10, 0
	s_waitcnt vmcnt(5)
	v_add_u32_e32 v14, 0x300, v12
	v_sub_u32_e32 v3, 0xfffffd00, v12
	v_ashrrev_i32_e32 v1, 31, v16
	s_xor_b64 exec, exec, s[0:1]
	s_cbranch_execz .LBB32_166
; %bb.165:
	s_waitcnt vmcnt(4)
	v_cmp_lt_f32_e32 vcc, v13, v5
	v_cndmask_b32_e32 v5, v5, v13, vcc
	v_cmp_lt_f32_e32 vcc, v7, v13
	v_cndmask_b32_e32 v7, v7, v13, vcc
	s_or_b64 s[2:3], s[2:3], exec
.LBB32_166:
	s_or_b64 exec, exec, s[0:1]
	v_mul_lo_u32 v2, v2, s5
	v_max_i32_e32 v16, v14, v3
	s_mov_b64 s[0:1], -1
	v_sub_u32_e32 v2, v17, v2
	v_subrev_u32_e32 v3, s5, v2
	v_cmp_le_u32_e32 vcc, s5, v2
	v_cndmask_b32_e32 v2, v2, v3, vcc
	v_subrev_u32_e32 v3, s5, v2
	v_cmp_le_u32_e32 vcc, s5, v2
	v_cndmask_b32_e32 v2, v2, v3, vcc
	v_xor_b32_e32 v2, v2, v1
	v_sub_u32_e32 v1, v2, v1
	v_cmp_gt_i32_e32 vcc, s38, v1
	s_and_b64 s[8:9], s[2:3], vcc
	s_xor_b64 s[8:9], s[8:9], -1
	s_and_saveexec_b64 s[10:11], s[8:9]
	s_xor_b64 s[8:9], exec, s[10:11]
	s_cbranch_execz .LBB32_170
; %bb.167:
	s_xor_b64 s[10:11], s[2:3], -1
	s_and_saveexec_b64 s[2:3], s[10:11]
	s_cbranch_execz .LBB32_169
; %bb.168:
	s_orn2_b64 s[0:1], vcc, exec
	s_waitcnt vmcnt(3)
	v_mov_b32_e32 v7, v11
	v_mov_b32_e32 v5, v11
.LBB32_169:
	s_or_b64 exec, exec, s[2:3]
                                        ; implicit-def: $vgpr11
.LBB32_170:
	s_or_saveexec_b64 s[2:3], s[8:9]
	v_mad_u64_u32 v[1:2], s[8:9], v16, v10, 0
	s_waitcnt vmcnt(4)
	v_add_u32_e32 v13, 0x380, v12
	v_sub_u32_e32 v1, 0xfffffc80, v12
	v_ashrrev_i32_e32 v3, 31, v15
	s_xor_b64 exec, exec, s[2:3]
	s_cbranch_execz .LBB32_172
; %bb.171:
	s_waitcnt vmcnt(3)
	v_cmp_lt_f32_e32 vcc, v11, v5
	v_cndmask_b32_e32 v5, v5, v11, vcc
	v_cmp_lt_f32_e32 vcc, v7, v11
	v_cndmask_b32_e32 v7, v7, v11, vcc
	s_or_b64 s[0:1], s[0:1], exec
.LBB32_172:
	s_or_b64 exec, exec, s[2:3]
	v_mul_lo_u32 v4, v4, s5
	v_max_i32_e32 v1, v13, v1
	s_mov_b64 s[2:3], -1
	v_sub_u32_e32 v4, v18, v4
	s_waitcnt vmcnt(3)
	v_subrev_u32_e32 v11, s5, v4
	v_cmp_le_u32_e32 vcc, s5, v4
	v_cndmask_b32_e32 v4, v4, v11, vcc
	v_subrev_u32_e32 v11, s5, v4
	v_cmp_le_u32_e32 vcc, s5, v4
	v_cndmask_b32_e32 v4, v4, v11, vcc
	v_xor_b32_e32 v4, v4, v3
	v_sub_u32_e32 v3, v4, v3
	v_cmp_gt_i32_e32 vcc, s38, v3
	s_and_b64 s[8:9], s[0:1], vcc
	s_xor_b64 s[8:9], s[8:9], -1
	s_and_saveexec_b64 s[10:11], s[8:9]
	s_xor_b64 s[8:9], exec, s[10:11]
	s_cbranch_execz .LBB32_176
; %bb.173:
	s_xor_b64 s[10:11], s[0:1], -1
	s_and_saveexec_b64 s[0:1], s[10:11]
	s_cbranch_execz .LBB32_175
; %bb.174:
	s_orn2_b64 s[2:3], vcc, exec
	s_waitcnt vmcnt(2)
	v_mov_b32_e32 v7, v9
	v_mov_b32_e32 v5, v9
.LBB32_175:
	s_or_b64 exec, exec, s[0:1]
                                        ; implicit-def: $vgpr9
.LBB32_176:
	s_or_saveexec_b64 s[0:1], s[8:9]
	v_mad_u64_u32 v[3:4], s[8:9], v1, v10, 0
	v_ashrrev_i32_e32 v3, 31, v14
	s_xor_b64 exec, exec, s[0:1]
	s_cbranch_execz .LBB32_178
; %bb.177:
	s_waitcnt vmcnt(2)
	v_cmp_lt_f32_e32 vcc, v9, v5
	v_cndmask_b32_e32 v5, v5, v9, vcc
	v_cmp_lt_f32_e32 vcc, v7, v9
	v_cndmask_b32_e32 v7, v7, v9, vcc
	s_or_b64 s[2:3], s[2:3], exec
.LBB32_178:
	s_or_b64 exec, exec, s[0:1]
	v_mul_lo_u32 v2, v2, s5
	s_mov_b64 s[0:1], -1
	v_sub_u32_e32 v2, v16, v2
	s_waitcnt vmcnt(2)
	v_subrev_u32_e32 v9, s5, v2
	v_cmp_le_u32_e32 vcc, s5, v2
	v_cndmask_b32_e32 v2, v2, v9, vcc
	v_subrev_u32_e32 v9, s5, v2
	v_cmp_le_u32_e32 vcc, s5, v2
	v_cndmask_b32_e32 v2, v2, v9, vcc
	v_xor_b32_e32 v2, v2, v3
	v_sub_u32_e32 v2, v2, v3
	v_cmp_gt_i32_e32 vcc, s38, v2
	s_and_b64 s[8:9], s[2:3], vcc
	s_xor_b64 s[8:9], s[8:9], -1
	s_and_saveexec_b64 s[10:11], s[8:9]
	s_xor_b64 s[8:9], exec, s[10:11]
	s_cbranch_execz .LBB32_182
; %bb.179:
	s_xor_b64 s[10:11], s[2:3], -1
	s_and_saveexec_b64 s[2:3], s[10:11]
	s_cbranch_execz .LBB32_181
; %bb.180:
	s_orn2_b64 s[0:1], vcc, exec
	s_waitcnt vmcnt(1)
	v_mov_b32_e32 v7, v8
	v_mov_b32_e32 v5, v8
.LBB32_181:
	s_or_b64 exec, exec, s[2:3]
                                        ; implicit-def: $vgpr8
.LBB32_182:
	s_or_saveexec_b64 s[2:3], s[8:9]
	v_ashrrev_i32_e32 v2, 31, v13
	s_xor_b64 exec, exec, s[2:3]
	s_cbranch_execz .LBB32_184
; %bb.183:
	s_waitcnt vmcnt(1)
	v_cmp_lt_f32_e32 vcc, v8, v5
	v_cndmask_b32_e32 v5, v5, v8, vcc
	v_cmp_lt_f32_e32 vcc, v7, v8
	v_cndmask_b32_e32 v7, v7, v8, vcc
	s_or_b64 s[0:1], s[0:1], exec
.LBB32_184:
	s_or_b64 exec, exec, s[2:3]
	v_mul_lo_u32 v3, v4, s5
	v_sub_u32_e32 v1, v1, v3
	v_subrev_u32_e32 v3, s5, v1
	v_cmp_le_u32_e32 vcc, s5, v1
	v_cndmask_b32_e32 v1, v1, v3, vcc
	v_subrev_u32_e32 v3, s5, v1
	v_cmp_le_u32_e32 vcc, s5, v1
	v_cndmask_b32_e32 v1, v1, v3, vcc
	v_xor_b32_e32 v1, v1, v2
	v_sub_u32_e32 v1, v1, v2
	v_cmp_gt_i32_e32 vcc, s38, v1
	s_and_b64 s[2:3], s[0:1], vcc
	s_xor_b64 s[2:3], s[2:3], -1
                                        ; implicit-def: $vgpr3
	s_and_saveexec_b64 s[8:9], s[2:3]
	s_xor_b64 s[2:3], exec, s[8:9]
	s_cbranch_execz .LBB32_188
; %bb.185:
	s_xor_b64 s[8:9], s[0:1], -1
	v_mov_b32_e32 v3, 1
	s_and_saveexec_b64 s[0:1], s[8:9]
	s_cbranch_execz .LBB32_187
; %bb.186:
	v_cndmask_b32_e64 v3, 0, 1, vcc
	s_waitcnt vmcnt(0)
	v_mov_b32_e32 v7, v6
	v_mov_b32_e32 v5, v6
.LBB32_187:
	s_or_b64 exec, exec, s[0:1]
                                        ; implicit-def: $vgpr6
.LBB32_188:
	s_andn2_saveexec_b64 s[0:1], s[2:3]
	s_cbranch_execz .LBB32_190
; %bb.189:
	s_waitcnt vmcnt(0)
	v_cmp_lt_f32_e32 vcc, v6, v5
	v_cndmask_b32_e32 v5, v5, v6, vcc
	v_cmp_lt_f32_e32 vcc, v7, v6
	v_cndmask_b32_e32 v7, v7, v6, vcc
	v_mov_b32_e32 v3, 1
.LBB32_190:
	s_or_b64 exec, exec, s[0:1]
	v_and_b32_e32 v4, 0xff, v3
	v_and_b32_e32 v3, 1, v3
	v_cmp_eq_u32_e64 s[0:1], 1, v3
	s_waitcnt vmcnt(0)
	v_mov_b32_dpp v6, v4 quad_perm:[1,0,3,2] row_mask:0xf bank_mask:0xf bound_ctrl:1
	v_and_b32_e32 v6, 1, v6
	v_cmp_eq_u32_e32 vcc, 1, v6
	s_and_b64 s[0:1], vcc, s[0:1]
	v_mov_b32_dpp v1, v5 quad_perm:[1,0,3,2] row_mask:0xf bank_mask:0xf bound_ctrl:1
	v_mov_b32_dpp v2, v7 quad_perm:[1,0,3,2] row_mask:0xf bank_mask:0xf bound_ctrl:1
	s_xor_b64 s[0:1], s[0:1], -1
                                        ; implicit-def: $vgpr6
	s_and_saveexec_b64 s[2:3], s[0:1]
	s_xor_b64 s[0:1], exec, s[2:3]
	s_cbranch_execz .LBB32_194
; %bb.191:
	s_xor_b64 s[8:9], vcc, -1
	v_mov_b32_e32 v6, 1
	s_and_saveexec_b64 s[2:3], s[8:9]
; %bb.192:
	v_mov_b32_e32 v2, v7
	v_mov_b32_e32 v1, v5
	;; [unrolled: 1-line block ×3, first 2 shown]
; %bb.193:
	s_or_b64 exec, exec, s[2:3]
                                        ; implicit-def: $vgpr5
                                        ; implicit-def: $vgpr7
.LBB32_194:
	s_andn2_saveexec_b64 s[0:1], s[0:1]
; %bb.195:
	v_cmp_lt_f32_e32 vcc, v5, v1
	v_cndmask_b32_e32 v1, v1, v5, vcc
	v_cmp_gt_f32_e32 vcc, v7, v2
	v_cndmask_b32_e32 v2, v2, v7, vcc
	v_mov_b32_e32 v6, 1
; %bb.196:
	s_or_b64 exec, exec, s[0:1]
	s_nop 0
	v_mov_b32_dpp v5, v6 quad_perm:[2,3,0,1] row_mask:0xf bank_mask:0xf bound_ctrl:1
	v_and_b32_e32 v7, 1, v5
	v_and_b32_e32 v5, v5, v6
	v_and_b32_e32 v5, 1, v5
	v_mov_b32_dpp v3, v1 quad_perm:[2,3,0,1] row_mask:0xf bank_mask:0xf bound_ctrl:1
	v_mov_b32_dpp v4, v2 quad_perm:[2,3,0,1] row_mask:0xf bank_mask:0xf bound_ctrl:1
	v_cmp_ne_u32_e32 vcc, 1, v7
	v_cmp_ne_u32_e64 s[0:1], 1, v5
                                        ; implicit-def: $vgpr7
	s_and_saveexec_b64 s[2:3], s[0:1]
	s_xor_b64 s[0:1], exec, s[2:3]
	s_cbranch_execz .LBB32_200
; %bb.197:
	v_mov_b32_e32 v7, 1
	s_and_saveexec_b64 s[2:3], vcc
; %bb.198:
	v_mov_b32_e32 v4, v2
	v_mov_b32_e32 v3, v1
	;; [unrolled: 1-line block ×3, first 2 shown]
; %bb.199:
	s_or_b64 exec, exec, s[2:3]
                                        ; implicit-def: $vgpr1
                                        ; implicit-def: $vgpr2
.LBB32_200:
	s_andn2_saveexec_b64 s[0:1], s[0:1]
; %bb.201:
	v_cmp_lt_f32_e32 vcc, v1, v3
	v_cndmask_b32_e32 v3, v3, v1, vcc
	v_cmp_gt_f32_e32 vcc, v2, v4
	v_cndmask_b32_e32 v4, v4, v2, vcc
	v_mov_b32_e32 v7, 1
; %bb.202:
	s_or_b64 exec, exec, s[0:1]
	s_nop 0
	v_mov_b32_dpp v2, v7 row_ror:4 row_mask:0xf bank_mask:0xf bound_ctrl:1
	v_and_b32_e32 v6, 1, v2
	v_and_b32_e32 v2, v2, v7
	;; [unrolled: 1-line block ×3, first 2 shown]
	v_mov_b32_dpp v1, v3 row_ror:4 row_mask:0xf bank_mask:0xf bound_ctrl:1
	v_mov_b32_dpp v5, v4 row_ror:4 row_mask:0xf bank_mask:0xf bound_ctrl:1
	v_cmp_ne_u32_e32 vcc, 1, v6
	v_cmp_ne_u32_e64 s[0:1], 1, v2
                                        ; implicit-def: $vgpr6
	s_and_saveexec_b64 s[2:3], s[0:1]
	s_xor_b64 s[0:1], exec, s[2:3]
	s_cbranch_execz .LBB32_206
; %bb.203:
	v_mov_b32_e32 v6, 1
	s_and_saveexec_b64 s[2:3], vcc
; %bb.204:
	v_mov_b32_e32 v5, v4
	v_mov_b32_e32 v1, v3
	;; [unrolled: 1-line block ×3, first 2 shown]
; %bb.205:
	s_or_b64 exec, exec, s[2:3]
                                        ; implicit-def: $vgpr3
                                        ; implicit-def: $vgpr4
.LBB32_206:
	s_andn2_saveexec_b64 s[0:1], s[0:1]
; %bb.207:
	v_cmp_lt_f32_e32 vcc, v3, v1
	v_cndmask_b32_e32 v1, v1, v3, vcc
	v_cmp_gt_f32_e32 vcc, v4, v5
	v_cndmask_b32_e32 v5, v5, v4, vcc
	v_mov_b32_e32 v6, 1
; %bb.208:
	s_or_b64 exec, exec, s[0:1]
	s_nop 0
	v_mov_b32_dpp v4, v6 row_ror:8 row_mask:0xf bank_mask:0xf bound_ctrl:1
	v_and_b32_e32 v7, 1, v4
	v_and_b32_e32 v4, v4, v6
	;; [unrolled: 1-line block ×3, first 2 shown]
	v_mov_b32_dpp v2, v1 row_ror:8 row_mask:0xf bank_mask:0xf bound_ctrl:1
	v_mov_b32_dpp v3, v5 row_ror:8 row_mask:0xf bank_mask:0xf bound_ctrl:1
	v_cmp_ne_u32_e32 vcc, 1, v7
	v_cmp_ne_u32_e64 s[0:1], 1, v4
                                        ; implicit-def: $vgpr7
	s_and_saveexec_b64 s[2:3], s[0:1]
	s_xor_b64 s[0:1], exec, s[2:3]
	s_cbranch_execz .LBB32_212
; %bb.209:
	v_mov_b32_e32 v7, 1
	s_and_saveexec_b64 s[2:3], vcc
; %bb.210:
	v_mov_b32_e32 v3, v5
	v_mov_b32_e32 v2, v1
	;; [unrolled: 1-line block ×3, first 2 shown]
; %bb.211:
	s_or_b64 exec, exec, s[2:3]
                                        ; implicit-def: $vgpr1
                                        ; implicit-def: $vgpr5
.LBB32_212:
	s_andn2_saveexec_b64 s[0:1], s[0:1]
; %bb.213:
	v_cmp_lt_f32_e32 vcc, v1, v2
	v_cndmask_b32_e32 v2, v2, v1, vcc
	v_cmp_gt_f32_e32 vcc, v5, v3
	v_cndmask_b32_e32 v3, v3, v5, vcc
	v_mov_b32_e32 v7, 1
; %bb.214:
	s_or_b64 exec, exec, s[0:1]
	s_nop 0
	v_mov_b32_dpp v5, v7 row_bcast:15 row_mask:0xf bank_mask:0xf bound_ctrl:1
	v_and_b32_e32 v6, 1, v5
	v_and_b32_e32 v5, v5, v7
	;; [unrolled: 1-line block ×3, first 2 shown]
	v_mov_b32_dpp v1, v2 row_bcast:15 row_mask:0xf bank_mask:0xf bound_ctrl:1
	v_mov_b32_dpp v4, v3 row_bcast:15 row_mask:0xf bank_mask:0xf bound_ctrl:1
	v_cmp_ne_u32_e32 vcc, 1, v6
	v_cmp_ne_u32_e64 s[0:1], 1, v5
                                        ; implicit-def: $vgpr5
	s_and_saveexec_b64 s[2:3], s[0:1]
	s_xor_b64 s[0:1], exec, s[2:3]
	s_cbranch_execz .LBB32_218
; %bb.215:
	v_mov_b32_e32 v5, 1
	s_and_saveexec_b64 s[2:3], vcc
; %bb.216:
	v_mov_b32_e32 v4, v3
	v_mov_b32_e32 v1, v2
	;; [unrolled: 1-line block ×3, first 2 shown]
; %bb.217:
	s_or_b64 exec, exec, s[2:3]
                                        ; implicit-def: $vgpr2
                                        ; implicit-def: $vgpr3
.LBB32_218:
	s_andn2_saveexec_b64 s[0:1], s[0:1]
; %bb.219:
	v_cmp_lt_f32_e32 vcc, v2, v1
	v_cndmask_b32_e32 v1, v1, v2, vcc
	v_cmp_gt_f32_e32 vcc, v3, v4
	v_cndmask_b32_e32 v4, v4, v3, vcc
	v_mov_b32_e32 v5, 1
; %bb.220:
	s_or_b64 exec, exec, s[0:1]
	s_nop 0
	v_mov_b32_dpp v6, v5 row_bcast:31 row_mask:0xf bank_mask:0xf bound_ctrl:1
	v_and_b32_e32 v7, 1, v6
	v_and_b32_e32 v6, v6, v5
	;; [unrolled: 1-line block ×3, first 2 shown]
	v_mov_b32_dpp v3, v1 row_bcast:31 row_mask:0xf bank_mask:0xf bound_ctrl:1
	v_mov_b32_dpp v2, v4 row_bcast:31 row_mask:0xf bank_mask:0xf bound_ctrl:1
	v_cmp_ne_u32_e32 vcc, 1, v7
	v_cmp_ne_u32_e64 s[0:1], 1, v6
                                        ; implicit-def: $vgpr6
	s_and_saveexec_b64 s[2:3], s[0:1]
	s_xor_b64 s[0:1], exec, s[2:3]
	s_cbranch_execz .LBB32_224
; %bb.221:
	v_mov_b32_e32 v6, 1
	s_and_saveexec_b64 s[2:3], vcc
; %bb.222:
	v_mov_b32_e32 v2, v4
	v_mov_b32_e32 v3, v1
	;; [unrolled: 1-line block ×3, first 2 shown]
; %bb.223:
	s_or_b64 exec, exec, s[2:3]
                                        ; implicit-def: $vgpr1
                                        ; implicit-def: $vgpr4
.LBB32_224:
	s_andn2_saveexec_b64 s[0:1], s[0:1]
; %bb.225:
	v_cmp_lt_f32_e32 vcc, v1, v3
	v_cndmask_b32_e32 v3, v3, v1, vcc
	v_cmp_gt_f32_e32 vcc, v4, v2
	v_cndmask_b32_e32 v2, v2, v4, vcc
	v_mov_b32_e32 v6, 1
; %bb.226:
	s_or_b64 exec, exec, s[0:1]
	v_mbcnt_lo_u32_b32 v1, -1, 0
	v_mbcnt_hi_u32_b32 v4, -1, v1
	v_lshlrev_b32_e32 v8, 2, v4
	v_or_b32_e32 v7, 0xfc, v8
	ds_bpermute_b32 v5, v7, v6
	ds_bpermute_b32 v1, v7, v3
	;; [unrolled: 1-line block ×3, first 2 shown]
	v_cmp_eq_u32_e32 vcc, 0, v4
	s_and_saveexec_b64 s[0:1], vcc
	s_cbranch_execz .LBB32_228
; %bb.227:
	v_lshrrev_b32_e32 v3, 6, v0
	v_mul_u32_u24_e32 v3, 12, v3
	s_waitcnt lgkmcnt(2)
	ds_write_b8 v3, v5 offset:160
	s_waitcnt lgkmcnt(1)
	ds_write2_b32 v3, v1, v2 offset0:41 offset1:42
.LBB32_228:
	s_or_b64 exec, exec, s[0:1]
	v_cmp_gt_u32_e32 vcc, 64, v0
	s_waitcnt lgkmcnt(0)
	s_barrier
	s_and_saveexec_b64 s[0:1], vcc
	s_cbranch_execz .LBB32_236
; %bb.229:
	v_and_b32_e32 v1, 1, v4
	v_mul_u32_u24_e32 v1, 12, v1
	ds_read_u8 v7, v1 offset:160
	ds_read2_b32 v[3:4], v1 offset0:41 offset1:42
	v_or_b32_e32 v2, 4, v8
	s_waitcnt lgkmcnt(1)
	v_and_b32_e32 v1, 0xff, v7
	ds_bpermute_b32 v6, v2, v1
	s_waitcnt lgkmcnt(1)
	ds_bpermute_b32 v1, v2, v3
	ds_bpermute_b32 v2, v2, v4
	s_waitcnt lgkmcnt(2)
	v_and_b32_e32 v5, v7, v6
	v_and_b32_e32 v5, 1, v5
	v_cmp_eq_u32_e32 vcc, 1, v5
	s_and_saveexec_b64 s[2:3], vcc
	s_xor_b64 s[2:3], exec, s[2:3]
	s_cbranch_execz .LBB32_231
; %bb.230:
	s_waitcnt lgkmcnt(1)
	v_cmp_gt_f32_e32 vcc, v3, v1
	v_cndmask_b32_e32 v1, v3, v1, vcc
	s_waitcnt lgkmcnt(0)
	v_cmp_lt_f32_e32 vcc, v4, v2
	v_cndmask_b32_e32 v2, v4, v2, vcc
                                        ; implicit-def: $vgpr4
                                        ; implicit-def: $vgpr6
                                        ; implicit-def: $vgpr7
.LBB32_231:
	s_or_saveexec_b64 s[2:3], s[2:3]
	v_mov_b32_e32 v5, 1
	s_xor_b64 exec, exec, s[2:3]
	s_cbranch_execz .LBB32_235
; %bb.232:
	v_and_b32_e32 v5, 1, v7
	v_cmp_eq_u32_e32 vcc, 1, v5
	s_and_saveexec_b64 s[8:9], vcc
	s_cbranch_execz .LBB32_234
; %bb.233:
	v_mov_b32_e32 v6, 1
	s_waitcnt lgkmcnt(0)
	v_mov_b32_e32 v2, v4
	v_mov_b32_e32 v1, v3
.LBB32_234:
	s_or_b64 exec, exec, s[8:9]
	v_mov_b32_e32 v5, v6
.LBB32_235:
	s_or_b64 exec, exec, s[2:3]
.LBB32_236:
	s_or_b64 exec, exec, s[0:1]
	s_mov_b64 s[0:1], 0
	s_branch .LBB32_287
.LBB32_237:
                                        ; implicit-def: $vgpr4
                                        ; implicit-def: $vgpr6
	s_branch .LBB32_675
.LBB32_238:
	s_mov_b64 s[0:1], -1
                                        ; implicit-def: $vgpr2
                                        ; implicit-def: $vgpr5
.LBB32_239:
	s_and_b64 vcc, exec, s[0:1]
	s_cbranch_vccz .LBB32_477
; %bb.240:
	s_sub_i32 s51, s40, s4
	v_cmp_gt_u32_e32 vcc, s51, v0
	v_mov_b32_e32 v5, 0
	v_mov_b32_e32 v29, 0
	s_waitcnt lgkmcnt(1)
	v_mov_b32_e32 v1, 0
	s_and_saveexec_b64 s[0:1], vcc
	s_cbranch_execz .LBB32_242
; %bb.241:
	v_lshlrev_b32_e32 v1, 2, v0
	global_load_dword v1, v1, s[30:31]
	s_abs_i32 s2, s39
	s_waitcnt lgkmcnt(0)
	v_cvt_f32_u32_e32 v2, s2
	s_sub_i32 s3, 0, s2
	v_add_u32_e32 v4, s50, v0
	v_sub_u32_e32 v5, 0, v4
	v_rcp_iflag_f32_e32 v2, v2
	v_max_i32_e32 v5, v4, v5
	v_mul_f32_e32 v2, 0x4f7ffffe, v2
	v_cvt_u32_f32_e32 v2, v2
	v_mul_lo_u32 v3, s3, v2
	v_mul_hi_u32 v3, v2, v3
	v_add_u32_e32 v2, v2, v3
	v_mul_hi_u32 v2, v5, v2
	v_ashrrev_i32_e32 v3, 31, v4
	v_mul_lo_u32 v2, v2, s2
	v_sub_u32_e32 v2, v5, v2
	v_subrev_u32_e32 v4, s2, v2
	v_cmp_le_u32_e32 vcc, s2, v2
	v_cndmask_b32_e32 v2, v2, v4, vcc
	v_subrev_u32_e32 v4, s2, v2
	v_cmp_le_u32_e32 vcc, s2, v2
	v_cndmask_b32_e32 v2, v2, v4, vcc
	v_xor_b32_e32 v2, v2, v3
	v_sub_u32_e32 v2, v2, v3
	v_cmp_gt_i32_e32 vcc, s38, v2
	v_cndmask_b32_e64 v5, 0, 1, vcc
.LBB32_242:
	s_or_b64 exec, exec, s[0:1]
	s_waitcnt lgkmcnt(0)
	v_or_b32_e32 v2, 0x80, v0
	v_cmp_gt_u32_e64 s[28:29], s51, v2
	v_mov_b32_e32 v33, 0
	s_and_saveexec_b64 s[0:1], s[28:29]
	s_cbranch_execz .LBB32_244
; %bb.243:
	v_lshlrev_b32_e32 v3, 2, v0
	global_load_dword v29, v3, s[30:31] offset:512
	s_abs_i32 s2, s39
	v_cvt_f32_u32_e32 v3, s2
	s_sub_i32 s3, 0, s2
	v_add_u32_e32 v2, s50, v2
	v_sub_u32_e32 v6, 0, v2
	v_rcp_iflag_f32_e32 v3, v3
	v_max_i32_e32 v6, v2, v6
	v_ashrrev_i32_e32 v2, 31, v2
	v_mul_f32_e32 v3, 0x4f7ffffe, v3
	v_cvt_u32_f32_e32 v3, v3
	v_mul_lo_u32 v4, s3, v3
	v_mul_hi_u32 v4, v3, v4
	v_add_u32_e32 v3, v3, v4
	v_mul_hi_u32 v3, v6, v3
	v_mul_lo_u32 v3, v3, s2
	v_sub_u32_e32 v3, v6, v3
	v_subrev_u32_e32 v4, s2, v3
	v_cmp_le_u32_e32 vcc, s2, v3
	v_cndmask_b32_e32 v3, v3, v4, vcc
	v_subrev_u32_e32 v4, s2, v3
	v_cmp_le_u32_e32 vcc, s2, v3
	v_cndmask_b32_e32 v3, v3, v4, vcc
	v_xor_b32_e32 v3, v3, v2
	v_sub_u32_e32 v2, v3, v2
	v_cmp_gt_i32_e32 vcc, s38, v2
	v_cndmask_b32_e64 v33, 0, 1, vcc
.LBB32_244:
	s_or_b64 exec, exec, s[0:1]
	v_or_b32_e32 v2, 0x100, v0
	v_cmp_gt_u32_e64 s[26:27], s51, v2
	v_mov_b32_e32 v32, 0
	v_mov_b32_e32 v25, 0
	;; [unrolled: 1-line block ×3, first 2 shown]
	s_and_saveexec_b64 s[0:1], s[26:27]
	s_cbranch_execz .LBB32_246
; %bb.245:
	v_lshlrev_b32_e32 v3, 2, v0
	global_load_dword v30, v3, s[30:31] offset:1024
	s_abs_i32 s2, s39
	v_cvt_f32_u32_e32 v3, s2
	s_sub_i32 s3, 0, s2
	v_add_u32_e32 v2, s50, v2
	v_sub_u32_e32 v6, 0, v2
	v_rcp_iflag_f32_e32 v3, v3
	v_max_i32_e32 v6, v2, v6
	v_ashrrev_i32_e32 v2, 31, v2
	v_mul_f32_e32 v3, 0x4f7ffffe, v3
	v_cvt_u32_f32_e32 v3, v3
	v_mul_lo_u32 v4, s3, v3
	v_mul_hi_u32 v4, v3, v4
	v_add_u32_e32 v3, v3, v4
	v_mul_hi_u32 v3, v6, v3
	v_mul_lo_u32 v3, v3, s2
	v_sub_u32_e32 v3, v6, v3
	v_subrev_u32_e32 v4, s2, v3
	v_cmp_le_u32_e32 vcc, s2, v3
	v_cndmask_b32_e32 v3, v3, v4, vcc
	v_subrev_u32_e32 v4, s2, v3
	v_cmp_le_u32_e32 vcc, s2, v3
	v_cndmask_b32_e32 v3, v3, v4, vcc
	v_xor_b32_e32 v3, v3, v2
	v_sub_u32_e32 v2, v3, v2
	v_cmp_gt_i32_e32 vcc, s38, v2
	v_cndmask_b32_e64 v32, 0, 1, vcc
.LBB32_246:
	s_or_b64 exec, exec, s[0:1]
	v_or_b32_e32 v2, 0x180, v0
	v_cmp_gt_u32_e64 s[24:25], s51, v2
	v_mov_b32_e32 v31, 0
	s_and_saveexec_b64 s[0:1], s[24:25]
	s_cbranch_execz .LBB32_248
; %bb.247:
	v_lshlrev_b32_e32 v3, 2, v0
	global_load_dword v25, v3, s[30:31] offset:1536
	s_abs_i32 s2, s39
	v_cvt_f32_u32_e32 v3, s2
	s_sub_i32 s3, 0, s2
	v_add_u32_e32 v2, s50, v2
	v_sub_u32_e32 v6, 0, v2
	v_rcp_iflag_f32_e32 v3, v3
	v_max_i32_e32 v6, v2, v6
	v_ashrrev_i32_e32 v2, 31, v2
	v_mul_f32_e32 v3, 0x4f7ffffe, v3
	v_cvt_u32_f32_e32 v3, v3
	v_mul_lo_u32 v4, s3, v3
	v_mul_hi_u32 v4, v3, v4
	v_add_u32_e32 v3, v3, v4
	v_mul_hi_u32 v3, v6, v3
	v_mul_lo_u32 v3, v3, s2
	v_sub_u32_e32 v3, v6, v3
	v_subrev_u32_e32 v4, s2, v3
	v_cmp_le_u32_e32 vcc, s2, v3
	v_cndmask_b32_e32 v3, v3, v4, vcc
	v_subrev_u32_e32 v4, s2, v3
	v_cmp_le_u32_e32 vcc, s2, v3
	v_cndmask_b32_e32 v3, v3, v4, vcc
	v_xor_b32_e32 v3, v3, v2
	v_sub_u32_e32 v2, v3, v2
	v_cmp_gt_i32_e32 vcc, s38, v2
	v_cndmask_b32_e64 v31, 0, 1, vcc
.LBB32_248:
	s_or_b64 exec, exec, s[0:1]
	v_or_b32_e32 v2, 0x200, v0
	v_cmp_gt_u32_e64 s[22:23], s51, v2
	v_mov_b32_e32 v28, 0
	v_mov_b32_e32 v21, 0
	;; [unrolled: 1-line block ×3, first 2 shown]
	s_and_saveexec_b64 s[0:1], s[22:23]
	s_cbranch_execz .LBB32_250
; %bb.249:
	v_lshlrev_b32_e32 v3, 2, v0
	global_load_dword v26, v3, s[30:31] offset:2048
	s_abs_i32 s2, s39
	v_cvt_f32_u32_e32 v3, s2
	s_sub_i32 s3, 0, s2
	v_add_u32_e32 v2, s50, v2
	v_sub_u32_e32 v6, 0, v2
	v_rcp_iflag_f32_e32 v3, v3
	v_max_i32_e32 v6, v2, v6
	v_ashrrev_i32_e32 v2, 31, v2
	v_mul_f32_e32 v3, 0x4f7ffffe, v3
	v_cvt_u32_f32_e32 v3, v3
	v_mul_lo_u32 v4, s3, v3
	v_mul_hi_u32 v4, v3, v4
	v_add_u32_e32 v3, v3, v4
	v_mul_hi_u32 v3, v6, v3
	v_mul_lo_u32 v3, v3, s2
	v_sub_u32_e32 v3, v6, v3
	v_subrev_u32_e32 v4, s2, v3
	v_cmp_le_u32_e32 vcc, s2, v3
	v_cndmask_b32_e32 v3, v3, v4, vcc
	v_subrev_u32_e32 v4, s2, v3
	v_cmp_le_u32_e32 vcc, s2, v3
	v_cndmask_b32_e32 v3, v3, v4, vcc
	v_xor_b32_e32 v3, v3, v2
	v_sub_u32_e32 v2, v3, v2
	v_cmp_gt_i32_e32 vcc, s38, v2
	v_cndmask_b32_e64 v28, 0, 1, vcc
.LBB32_250:
	s_or_b64 exec, exec, s[0:1]
	v_or_b32_e32 v2, 0x280, v0
	v_cmp_gt_u32_e64 s[20:21], s51, v2
	v_mov_b32_e32 v27, 0
	s_and_saveexec_b64 s[0:1], s[20:21]
	s_cbranch_execz .LBB32_252
; %bb.251:
	v_lshlrev_b32_e32 v3, 2, v0
	global_load_dword v21, v3, s[30:31] offset:2560
	s_abs_i32 s2, s39
	v_cvt_f32_u32_e32 v3, s2
	s_sub_i32 s3, 0, s2
	v_add_u32_e32 v2, s50, v2
	v_sub_u32_e32 v6, 0, v2
	v_rcp_iflag_f32_e32 v3, v3
	v_max_i32_e32 v6, v2, v6
	v_ashrrev_i32_e32 v2, 31, v2
	v_mul_f32_e32 v3, 0x4f7ffffe, v3
	v_cvt_u32_f32_e32 v3, v3
	v_mul_lo_u32 v4, s3, v3
	v_mul_hi_u32 v4, v3, v4
	v_add_u32_e32 v3, v3, v4
	v_mul_hi_u32 v3, v6, v3
	v_mul_lo_u32 v3, v3, s2
	v_sub_u32_e32 v3, v6, v3
	v_subrev_u32_e32 v4, s2, v3
	v_cmp_le_u32_e32 vcc, s2, v3
	v_cndmask_b32_e32 v3, v3, v4, vcc
	v_subrev_u32_e32 v4, s2, v3
	v_cmp_le_u32_e32 vcc, s2, v3
	v_cndmask_b32_e32 v3, v3, v4, vcc
	v_xor_b32_e32 v3, v3, v2
	v_sub_u32_e32 v2, v3, v2
	v_cmp_gt_i32_e32 vcc, s38, v2
	v_cndmask_b32_e64 v27, 0, 1, vcc
.LBB32_252:
	s_or_b64 exec, exec, s[0:1]
	v_or_b32_e32 v2, 0x300, v0
	v_cmp_gt_u32_e64 s[18:19], s51, v2
	v_mov_b32_e32 v24, 0
	v_mov_b32_e32 v17, 0
	;; [unrolled: 1-line block ×3, first 2 shown]
	s_and_saveexec_b64 s[0:1], s[18:19]
	s_cbranch_execz .LBB32_254
; %bb.253:
	v_lshlrev_b32_e32 v3, 2, v0
	global_load_dword v22, v3, s[30:31] offset:3072
	s_abs_i32 s2, s39
	v_cvt_f32_u32_e32 v3, s2
	s_sub_i32 s3, 0, s2
	v_add_u32_e32 v2, s50, v2
	v_sub_u32_e32 v6, 0, v2
	v_rcp_iflag_f32_e32 v3, v3
	v_max_i32_e32 v6, v2, v6
	v_ashrrev_i32_e32 v2, 31, v2
	v_mul_f32_e32 v3, 0x4f7ffffe, v3
	v_cvt_u32_f32_e32 v3, v3
	v_mul_lo_u32 v4, s3, v3
	v_mul_hi_u32 v4, v3, v4
	v_add_u32_e32 v3, v3, v4
	v_mul_hi_u32 v3, v6, v3
	v_mul_lo_u32 v3, v3, s2
	v_sub_u32_e32 v3, v6, v3
	v_subrev_u32_e32 v4, s2, v3
	v_cmp_le_u32_e32 vcc, s2, v3
	v_cndmask_b32_e32 v3, v3, v4, vcc
	v_subrev_u32_e32 v4, s2, v3
	v_cmp_le_u32_e32 vcc, s2, v3
	v_cndmask_b32_e32 v3, v3, v4, vcc
	v_xor_b32_e32 v3, v3, v2
	v_sub_u32_e32 v2, v3, v2
	v_cmp_gt_i32_e32 vcc, s38, v2
	v_cndmask_b32_e64 v24, 0, 1, vcc
.LBB32_254:
	s_or_b64 exec, exec, s[0:1]
	v_or_b32_e32 v2, 0x380, v0
	v_cmp_gt_u32_e64 s[16:17], s51, v2
	v_mov_b32_e32 v23, 0
	s_and_saveexec_b64 s[0:1], s[16:17]
	s_cbranch_execz .LBB32_256
; %bb.255:
	v_lshlrev_b32_e32 v3, 2, v0
	global_load_dword v17, v3, s[30:31] offset:3584
	s_abs_i32 s2, s39
	v_cvt_f32_u32_e32 v3, s2
	s_sub_i32 s3, 0, s2
	v_add_u32_e32 v2, s50, v2
	v_sub_u32_e32 v6, 0, v2
	v_rcp_iflag_f32_e32 v3, v3
	v_max_i32_e32 v6, v2, v6
	v_ashrrev_i32_e32 v2, 31, v2
	v_mul_f32_e32 v3, 0x4f7ffffe, v3
	v_cvt_u32_f32_e32 v3, v3
	v_mul_lo_u32 v4, s3, v3
	v_mul_hi_u32 v4, v3, v4
	v_add_u32_e32 v3, v3, v4
	v_mul_hi_u32 v3, v6, v3
	v_mul_lo_u32 v3, v3, s2
	v_sub_u32_e32 v3, v6, v3
	v_subrev_u32_e32 v4, s2, v3
	v_cmp_le_u32_e32 vcc, s2, v3
	v_cndmask_b32_e32 v3, v3, v4, vcc
	v_subrev_u32_e32 v4, s2, v3
	v_cmp_le_u32_e32 vcc, s2, v3
	v_cndmask_b32_e32 v3, v3, v4, vcc
	v_xor_b32_e32 v3, v3, v2
	v_sub_u32_e32 v2, v3, v2
	v_cmp_gt_i32_e32 vcc, s38, v2
	v_cndmask_b32_e64 v23, 0, 1, vcc
.LBB32_256:
	s_or_b64 exec, exec, s[0:1]
	v_or_b32_e32 v2, 0x400, v0
	v_cmp_gt_u32_e64 s[14:15], s51, v2
	v_mov_b32_e32 v20, 0
	v_mov_b32_e32 v13, 0
	;; [unrolled: 1-line block ×3, first 2 shown]
	s_and_saveexec_b64 s[0:1], s[14:15]
	s_cbranch_execz .LBB32_258
; %bb.257:
	v_lshlrev_b32_e32 v3, 2, v2
	global_load_dword v18, v3, s[30:31]
	s_abs_i32 s2, s39
	v_cvt_f32_u32_e32 v3, s2
	s_sub_i32 s3, 0, s2
	v_add_u32_e32 v2, s50, v2
	v_sub_u32_e32 v6, 0, v2
	v_rcp_iflag_f32_e32 v3, v3
	v_max_i32_e32 v6, v2, v6
	v_ashrrev_i32_e32 v2, 31, v2
	v_mul_f32_e32 v3, 0x4f7ffffe, v3
	v_cvt_u32_f32_e32 v3, v3
	v_mul_lo_u32 v4, s3, v3
	v_mul_hi_u32 v4, v3, v4
	v_add_u32_e32 v3, v3, v4
	v_mul_hi_u32 v3, v6, v3
	v_mul_lo_u32 v3, v3, s2
	v_sub_u32_e32 v3, v6, v3
	v_subrev_u32_e32 v4, s2, v3
	v_cmp_le_u32_e32 vcc, s2, v3
	v_cndmask_b32_e32 v3, v3, v4, vcc
	v_subrev_u32_e32 v4, s2, v3
	v_cmp_le_u32_e32 vcc, s2, v3
	v_cndmask_b32_e32 v3, v3, v4, vcc
	v_xor_b32_e32 v3, v3, v2
	v_sub_u32_e32 v2, v3, v2
	v_cmp_gt_i32_e32 vcc, s38, v2
	v_cndmask_b32_e64 v20, 0, 1, vcc
.LBB32_258:
	s_or_b64 exec, exec, s[0:1]
	v_or_b32_e32 v2, 0x480, v0
	v_cmp_gt_u32_e64 s[12:13], s51, v2
	v_mov_b32_e32 v19, 0
	s_and_saveexec_b64 s[0:1], s[12:13]
	s_cbranch_execz .LBB32_260
; %bb.259:
	v_lshlrev_b32_e32 v3, 2, v2
	global_load_dword v13, v3, s[30:31]
	s_abs_i32 s2, s39
	v_cvt_f32_u32_e32 v3, s2
	s_sub_i32 s3, 0, s2
	v_add_u32_e32 v2, s50, v2
	v_sub_u32_e32 v6, 0, v2
	v_rcp_iflag_f32_e32 v3, v3
	v_max_i32_e32 v6, v2, v6
	v_ashrrev_i32_e32 v2, 31, v2
	v_mul_f32_e32 v3, 0x4f7ffffe, v3
	v_cvt_u32_f32_e32 v3, v3
	v_mul_lo_u32 v4, s3, v3
	v_mul_hi_u32 v4, v3, v4
	v_add_u32_e32 v3, v3, v4
	v_mul_hi_u32 v3, v6, v3
	v_mul_lo_u32 v3, v3, s2
	v_sub_u32_e32 v3, v6, v3
	v_subrev_u32_e32 v4, s2, v3
	v_cmp_le_u32_e32 vcc, s2, v3
	v_cndmask_b32_e32 v3, v3, v4, vcc
	v_subrev_u32_e32 v4, s2, v3
	v_cmp_le_u32_e32 vcc, s2, v3
	v_cndmask_b32_e32 v3, v3, v4, vcc
	v_xor_b32_e32 v3, v3, v2
	v_sub_u32_e32 v2, v3, v2
	v_cmp_gt_i32_e32 vcc, s38, v2
	v_cndmask_b32_e64 v19, 0, 1, vcc
.LBB32_260:
	s_or_b64 exec, exec, s[0:1]
	v_or_b32_e32 v2, 0x500, v0
	v_cmp_gt_u32_e64 s[10:11], s51, v2
	v_mov_b32_e32 v16, 0
	v_mov_b32_e32 v10, 0
	;; [unrolled: 1-line block ×3, first 2 shown]
	s_and_saveexec_b64 s[0:1], s[10:11]
	s_cbranch_execz .LBB32_262
; %bb.261:
	v_lshlrev_b32_e32 v3, 2, v2
	global_load_dword v14, v3, s[30:31]
	s_abs_i32 s2, s39
	v_cvt_f32_u32_e32 v3, s2
	s_sub_i32 s3, 0, s2
	v_add_u32_e32 v2, s50, v2
	v_sub_u32_e32 v6, 0, v2
	v_rcp_iflag_f32_e32 v3, v3
	v_max_i32_e32 v6, v2, v6
	v_ashrrev_i32_e32 v2, 31, v2
	v_mul_f32_e32 v3, 0x4f7ffffe, v3
	v_cvt_u32_f32_e32 v3, v3
	v_mul_lo_u32 v4, s3, v3
	v_mul_hi_u32 v4, v3, v4
	v_add_u32_e32 v3, v3, v4
	v_mul_hi_u32 v3, v6, v3
	v_mul_lo_u32 v3, v3, s2
	v_sub_u32_e32 v3, v6, v3
	v_subrev_u32_e32 v4, s2, v3
	v_cmp_le_u32_e32 vcc, s2, v3
	v_cndmask_b32_e32 v3, v3, v4, vcc
	v_subrev_u32_e32 v4, s2, v3
	v_cmp_le_u32_e32 vcc, s2, v3
	v_cndmask_b32_e32 v3, v3, v4, vcc
	v_xor_b32_e32 v3, v3, v2
	v_sub_u32_e32 v2, v3, v2
	v_cmp_gt_i32_e32 vcc, s38, v2
	v_cndmask_b32_e64 v16, 0, 1, vcc
.LBB32_262:
	s_or_b64 exec, exec, s[0:1]
	v_or_b32_e32 v2, 0x580, v0
	v_cmp_gt_u32_e64 s[8:9], s51, v2
	v_mov_b32_e32 v15, 0
	s_and_saveexec_b64 s[0:1], s[8:9]
	s_cbranch_execz .LBB32_264
; %bb.263:
	v_lshlrev_b32_e32 v3, 2, v2
	global_load_dword v10, v3, s[30:31]
	s_abs_i32 s2, s39
	v_cvt_f32_u32_e32 v3, s2
	s_sub_i32 s3, 0, s2
	v_add_u32_e32 v2, s50, v2
	v_sub_u32_e32 v6, 0, v2
	v_rcp_iflag_f32_e32 v3, v3
	v_max_i32_e32 v6, v2, v6
	v_ashrrev_i32_e32 v2, 31, v2
	v_mul_f32_e32 v3, 0x4f7ffffe, v3
	v_cvt_u32_f32_e32 v3, v3
	v_mul_lo_u32 v4, s3, v3
	v_mul_hi_u32 v4, v3, v4
	v_add_u32_e32 v3, v3, v4
	v_mul_hi_u32 v3, v6, v3
	v_mul_lo_u32 v3, v3, s2
	v_sub_u32_e32 v3, v6, v3
	v_subrev_u32_e32 v4, s2, v3
	v_cmp_le_u32_e32 vcc, s2, v3
	v_cndmask_b32_e32 v3, v3, v4, vcc
	v_subrev_u32_e32 v4, s2, v3
	v_cmp_le_u32_e32 vcc, s2, v3
	v_cndmask_b32_e32 v3, v3, v4, vcc
	v_xor_b32_e32 v3, v3, v2
	v_sub_u32_e32 v2, v3, v2
	v_cmp_gt_i32_e32 vcc, s38, v2
	v_cndmask_b32_e64 v15, 0, 1, vcc
.LBB32_264:
	s_or_b64 exec, exec, s[0:1]
	v_or_b32_e32 v2, 0x600, v0
	v_cmp_gt_u32_e64 s[4:5], s51, v2
	v_mov_b32_e32 v11, 0
	v_mov_b32_e32 v8, 0
	;; [unrolled: 1-line block ×3, first 2 shown]
	s_and_saveexec_b64 s[0:1], s[4:5]
	s_cbranch_execz .LBB32_266
; %bb.265:
	v_lshlrev_b32_e32 v3, 2, v2
	global_load_dword v11, v3, s[30:31]
	s_abs_i32 s2, s39
	v_cvt_f32_u32_e32 v3, s2
	s_sub_i32 s3, 0, s2
	v_add_u32_e32 v2, s50, v2
	v_sub_u32_e32 v6, 0, v2
	v_rcp_iflag_f32_e32 v3, v3
	v_max_i32_e32 v6, v2, v6
	v_ashrrev_i32_e32 v2, 31, v2
	v_mul_f32_e32 v3, 0x4f7ffffe, v3
	v_cvt_u32_f32_e32 v3, v3
	v_mul_lo_u32 v4, s3, v3
	v_mul_hi_u32 v4, v3, v4
	v_add_u32_e32 v3, v3, v4
	v_mul_hi_u32 v3, v6, v3
	v_mul_lo_u32 v3, v3, s2
	v_sub_u32_e32 v3, v6, v3
	v_subrev_u32_e32 v4, s2, v3
	v_cmp_le_u32_e32 vcc, s2, v3
	v_cndmask_b32_e32 v3, v3, v4, vcc
	v_subrev_u32_e32 v4, s2, v3
	v_cmp_le_u32_e32 vcc, s2, v3
	v_cndmask_b32_e32 v3, v3, v4, vcc
	v_xor_b32_e32 v3, v3, v2
	v_sub_u32_e32 v2, v3, v2
	v_cmp_gt_i32_e32 vcc, s38, v2
	v_cndmask_b32_e64 v12, 0, 1, vcc
.LBB32_266:
	s_or_b64 exec, exec, s[0:1]
	v_or_b32_e32 v2, 0x680, v0
	v_cmp_gt_u32_e64 s[2:3], s51, v2
	v_mov_b32_e32 v7, 0
	s_and_saveexec_b64 s[0:1], s[2:3]
	s_cbranch_execz .LBB32_268
; %bb.267:
	v_lshlrev_b32_e32 v3, 2, v2
	global_load_dword v7, v3, s[30:31]
	s_abs_i32 s48, s39
	v_cvt_f32_u32_e32 v3, s48
	s_sub_i32 s49, 0, s48
	v_add_u32_e32 v2, s50, v2
	v_sub_u32_e32 v6, 0, v2
	v_rcp_iflag_f32_e32 v3, v3
	v_max_i32_e32 v6, v2, v6
	v_ashrrev_i32_e32 v2, 31, v2
	v_mul_f32_e32 v3, 0x4f7ffffe, v3
	v_cvt_u32_f32_e32 v3, v3
	v_mul_lo_u32 v4, s49, v3
	v_mul_hi_u32 v4, v3, v4
	v_add_u32_e32 v3, v3, v4
	v_mul_hi_u32 v3, v6, v3
	v_mul_lo_u32 v3, v3, s48
	v_sub_u32_e32 v3, v6, v3
	v_subrev_u32_e32 v4, s48, v3
	v_cmp_le_u32_e32 vcc, s48, v3
	v_cndmask_b32_e32 v3, v3, v4, vcc
	v_subrev_u32_e32 v4, s48, v3
	v_cmp_le_u32_e32 vcc, s48, v3
	v_cndmask_b32_e32 v3, v3, v4, vcc
	v_xor_b32_e32 v3, v3, v2
	v_sub_u32_e32 v2, v3, v2
	v_cmp_gt_i32_e32 vcc, s38, v2
	v_cndmask_b32_e64 v8, 0, 1, vcc
.LBB32_268:
	s_or_b64 exec, exec, s[0:1]
	v_or_b32_e32 v2, 0x700, v0
	v_cmp_gt_u32_e64 s[0:1], s51, v2
	v_mov_b32_e32 v6, 0
	v_mov_b32_e32 v4, 0
	;; [unrolled: 1-line block ×3, first 2 shown]
	s_and_saveexec_b64 s[48:49], s[0:1]
	s_cbranch_execz .LBB32_270
; %bb.269:
	v_lshlrev_b32_e32 v3, 2, v2
	global_load_dword v6, v3, s[30:31]
	s_abs_i32 s52, s39
	v_cvt_f32_u32_e32 v3, s52
	s_sub_i32 s53, 0, s52
	v_add_u32_e32 v2, s50, v2
	v_sub_u32_e32 v34, 0, v2
	v_rcp_iflag_f32_e32 v3, v3
	v_max_i32_e32 v34, v2, v34
	v_ashrrev_i32_e32 v2, 31, v2
	v_mul_f32_e32 v3, 0x4f7ffffe, v3
	v_cvt_u32_f32_e32 v3, v3
	v_mul_lo_u32 v9, s53, v3
	v_mul_hi_u32 v9, v3, v9
	v_add_u32_e32 v3, v3, v9
	v_mul_hi_u32 v3, v34, v3
	v_mul_lo_u32 v3, v3, s52
	v_sub_u32_e32 v3, v34, v3
	v_subrev_u32_e32 v9, s52, v3
	v_cmp_le_u32_e32 vcc, s52, v3
	v_cndmask_b32_e32 v3, v3, v9, vcc
	v_subrev_u32_e32 v9, s52, v3
	v_cmp_le_u32_e32 vcc, s52, v3
	v_cndmask_b32_e32 v3, v3, v9, vcc
	v_xor_b32_e32 v3, v3, v2
	v_sub_u32_e32 v2, v3, v2
	v_cmp_gt_i32_e32 vcc, s38, v2
	v_cndmask_b32_e64 v9, 0, 1, vcc
.LBB32_270:
	s_or_b64 exec, exec, s[48:49]
	v_or_b32_e32 v2, 0x780, v0
	v_cmp_gt_u32_e32 vcc, s51, v2
	v_mov_b32_e32 v3, 0
	s_and_saveexec_b64 s[48:49], vcc
	s_cbranch_execnz .LBB32_310
; %bb.271:
	s_or_b64 exec, exec, s[48:49]
	s_waitcnt vmcnt(0)
	v_mov_b32_e32 v2, v1
	s_and_saveexec_b64 s[48:49], s[28:29]
	s_cbranch_execnz .LBB32_311
.LBB32_272:
	s_or_b64 exec, exec, s[48:49]
	s_and_saveexec_b64 s[30:31], s[26:27]
	s_cbranch_execnz .LBB32_318
.LBB32_273:
	s_or_b64 exec, exec, s[30:31]
	s_and_saveexec_b64 s[28:29], s[24:25]
	s_cbranch_execnz .LBB32_325
.LBB32_274:
	s_or_b64 exec, exec, s[28:29]
	s_and_saveexec_b64 s[26:27], s[22:23]
	s_cbranch_execnz .LBB32_332
.LBB32_275:
	s_or_b64 exec, exec, s[26:27]
	s_and_saveexec_b64 s[24:25], s[20:21]
	s_cbranch_execnz .LBB32_339
.LBB32_276:
	s_or_b64 exec, exec, s[24:25]
	s_and_saveexec_b64 s[22:23], s[18:19]
	s_cbranch_execnz .LBB32_346
.LBB32_277:
	s_or_b64 exec, exec, s[22:23]
	s_and_saveexec_b64 s[20:21], s[16:17]
	s_cbranch_execnz .LBB32_353
.LBB32_278:
	s_or_b64 exec, exec, s[20:21]
	s_and_saveexec_b64 s[18:19], s[14:15]
	s_cbranch_execnz .LBB32_360
.LBB32_279:
	s_or_b64 exec, exec, s[18:19]
	s_and_saveexec_b64 s[16:17], s[12:13]
	s_cbranch_execnz .LBB32_367
.LBB32_280:
	s_or_b64 exec, exec, s[16:17]
	s_and_saveexec_b64 s[14:15], s[10:11]
	s_cbranch_execnz .LBB32_374
.LBB32_281:
	s_or_b64 exec, exec, s[14:15]
	s_and_saveexec_b64 s[12:13], s[8:9]
	s_cbranch_execnz .LBB32_381
.LBB32_282:
	s_or_b64 exec, exec, s[12:13]
	s_and_saveexec_b64 s[10:11], s[4:5]
	s_cbranch_execnz .LBB32_388
.LBB32_283:
	s_or_b64 exec, exec, s[10:11]
	s_and_saveexec_b64 s[8:9], s[2:3]
	s_cbranch_execnz .LBB32_395
.LBB32_284:
	s_or_b64 exec, exec, s[8:9]
	s_and_saveexec_b64 s[4:5], s[0:1]
	s_cbranch_execnz .LBB32_402
.LBB32_285:
	s_or_b64 exec, exec, s[4:5]
	s_and_saveexec_b64 s[2:3], vcc
	s_cbranch_execnz .LBB32_409
	s_branch .LBB32_416
.LBB32_286:
	s_mov_b64 s[0:1], -1
                                        ; implicit-def: $vgpr2
                                        ; implicit-def: $vgpr5
.LBB32_287:
	s_and_b64 vcc, exec, s[0:1]
	s_cbranch_vccz .LBB32_598
; %bb.288:
	s_sub_i32 s21, s40, s4
	v_cmp_gt_u32_e32 vcc, s21, v0
	v_mov_b32_e32 v5, 0
	v_mov_b32_e32 v13, 0
	s_waitcnt lgkmcnt(1)
	v_mov_b32_e32 v1, 0
	s_and_saveexec_b64 s[0:1], vcc
	s_cbranch_execz .LBB32_290
; %bb.289:
	v_lshlrev_b32_e32 v1, 2, v0
	global_load_dword v1, v1, s[14:15]
	s_abs_i32 s2, s39
	s_waitcnt lgkmcnt(0)
	v_cvt_f32_u32_e32 v2, s2
	s_sub_i32 s3, 0, s2
	v_add_u32_e32 v4, s20, v0
	v_sub_u32_e32 v5, 0, v4
	v_rcp_iflag_f32_e32 v2, v2
	v_max_i32_e32 v5, v4, v5
	v_mul_f32_e32 v2, 0x4f7ffffe, v2
	v_cvt_u32_f32_e32 v2, v2
	v_mul_lo_u32 v3, s3, v2
	v_mul_hi_u32 v3, v2, v3
	v_add_u32_e32 v2, v2, v3
	v_mul_hi_u32 v2, v5, v2
	v_ashrrev_i32_e32 v3, 31, v4
	v_mul_lo_u32 v2, v2, s2
	v_sub_u32_e32 v2, v5, v2
	v_subrev_u32_e32 v4, s2, v2
	v_cmp_le_u32_e32 vcc, s2, v2
	v_cndmask_b32_e32 v2, v2, v4, vcc
	v_subrev_u32_e32 v4, s2, v2
	v_cmp_le_u32_e32 vcc, s2, v2
	v_cndmask_b32_e32 v2, v2, v4, vcc
	v_xor_b32_e32 v2, v2, v3
	v_sub_u32_e32 v2, v2, v3
	v_cmp_gt_i32_e32 vcc, s38, v2
	v_cndmask_b32_e64 v5, 0, 1, vcc
.LBB32_290:
	s_or_b64 exec, exec, s[0:1]
	s_waitcnt lgkmcnt(0)
	v_or_b32_e32 v2, 0x80, v0
	v_cmp_gt_u32_e64 s[12:13], s21, v2
	v_mov_b32_e32 v17, 0
	s_and_saveexec_b64 s[0:1], s[12:13]
	s_cbranch_execz .LBB32_292
; %bb.291:
	v_lshlrev_b32_e32 v3, 2, v0
	global_load_dword v13, v3, s[14:15] offset:512
	s_abs_i32 s2, s39
	v_cvt_f32_u32_e32 v3, s2
	s_sub_i32 s3, 0, s2
	v_add_u32_e32 v2, s20, v2
	v_sub_u32_e32 v6, 0, v2
	v_rcp_iflag_f32_e32 v3, v3
	v_max_i32_e32 v6, v2, v6
	v_ashrrev_i32_e32 v2, 31, v2
	v_mul_f32_e32 v3, 0x4f7ffffe, v3
	v_cvt_u32_f32_e32 v3, v3
	v_mul_lo_u32 v4, s3, v3
	v_mul_hi_u32 v4, v3, v4
	v_add_u32_e32 v3, v3, v4
	v_mul_hi_u32 v3, v6, v3
	v_mul_lo_u32 v3, v3, s2
	v_sub_u32_e32 v3, v6, v3
	v_subrev_u32_e32 v4, s2, v3
	v_cmp_le_u32_e32 vcc, s2, v3
	v_cndmask_b32_e32 v3, v3, v4, vcc
	v_subrev_u32_e32 v4, s2, v3
	v_cmp_le_u32_e32 vcc, s2, v3
	v_cndmask_b32_e32 v3, v3, v4, vcc
	v_xor_b32_e32 v3, v3, v2
	v_sub_u32_e32 v2, v3, v2
	v_cmp_gt_i32_e32 vcc, s38, v2
	v_cndmask_b32_e64 v17, 0, 1, vcc
.LBB32_292:
	s_or_b64 exec, exec, s[0:1]
	v_or_b32_e32 v2, 0x100, v0
	v_cmp_gt_u32_e64 s[10:11], s21, v2
	v_mov_b32_e32 v16, 0
	v_mov_b32_e32 v9, 0
	;; [unrolled: 1-line block ×3, first 2 shown]
	s_and_saveexec_b64 s[0:1], s[10:11]
	s_cbranch_execz .LBB32_294
; %bb.293:
	v_lshlrev_b32_e32 v3, 2, v0
	global_load_dword v14, v3, s[14:15] offset:1024
	s_abs_i32 s2, s39
	v_cvt_f32_u32_e32 v3, s2
	s_sub_i32 s3, 0, s2
	v_add_u32_e32 v2, s20, v2
	v_sub_u32_e32 v6, 0, v2
	v_rcp_iflag_f32_e32 v3, v3
	v_max_i32_e32 v6, v2, v6
	v_ashrrev_i32_e32 v2, 31, v2
	v_mul_f32_e32 v3, 0x4f7ffffe, v3
	v_cvt_u32_f32_e32 v3, v3
	v_mul_lo_u32 v4, s3, v3
	v_mul_hi_u32 v4, v3, v4
	v_add_u32_e32 v3, v3, v4
	v_mul_hi_u32 v3, v6, v3
	v_mul_lo_u32 v3, v3, s2
	v_sub_u32_e32 v3, v6, v3
	v_subrev_u32_e32 v4, s2, v3
	v_cmp_le_u32_e32 vcc, s2, v3
	v_cndmask_b32_e32 v3, v3, v4, vcc
	v_subrev_u32_e32 v4, s2, v3
	v_cmp_le_u32_e32 vcc, s2, v3
	v_cndmask_b32_e32 v3, v3, v4, vcc
	v_xor_b32_e32 v3, v3, v2
	v_sub_u32_e32 v2, v3, v2
	v_cmp_gt_i32_e32 vcc, s38, v2
	v_cndmask_b32_e64 v16, 0, 1, vcc
.LBB32_294:
	s_or_b64 exec, exec, s[0:1]
	v_or_b32_e32 v2, 0x180, v0
	v_cmp_gt_u32_e64 s[8:9], s21, v2
	v_mov_b32_e32 v15, 0
	s_and_saveexec_b64 s[0:1], s[8:9]
	s_cbranch_execz .LBB32_296
; %bb.295:
	v_lshlrev_b32_e32 v3, 2, v0
	global_load_dword v9, v3, s[14:15] offset:1536
	s_abs_i32 s2, s39
	v_cvt_f32_u32_e32 v3, s2
	s_sub_i32 s3, 0, s2
	v_add_u32_e32 v2, s20, v2
	v_sub_u32_e32 v6, 0, v2
	v_rcp_iflag_f32_e32 v3, v3
	v_max_i32_e32 v6, v2, v6
	v_ashrrev_i32_e32 v2, 31, v2
	v_mul_f32_e32 v3, 0x4f7ffffe, v3
	v_cvt_u32_f32_e32 v3, v3
	v_mul_lo_u32 v4, s3, v3
	v_mul_hi_u32 v4, v3, v4
	v_add_u32_e32 v3, v3, v4
	v_mul_hi_u32 v3, v6, v3
	v_mul_lo_u32 v3, v3, s2
	v_sub_u32_e32 v3, v6, v3
	v_subrev_u32_e32 v4, s2, v3
	v_cmp_le_u32_e32 vcc, s2, v3
	v_cndmask_b32_e32 v3, v3, v4, vcc
	v_subrev_u32_e32 v4, s2, v3
	v_cmp_le_u32_e32 vcc, s2, v3
	v_cndmask_b32_e32 v3, v3, v4, vcc
	v_xor_b32_e32 v3, v3, v2
	v_sub_u32_e32 v2, v3, v2
	v_cmp_gt_i32_e32 vcc, s38, v2
	v_cndmask_b32_e64 v15, 0, 1, vcc
.LBB32_296:
	s_or_b64 exec, exec, s[0:1]
	v_or_b32_e32 v2, 0x200, v0
	v_cmp_gt_u32_e64 s[4:5], s21, v2
	v_mov_b32_e32 v12, 0
	v_mov_b32_e32 v6, 0
	;; [unrolled: 1-line block ×3, first 2 shown]
	s_and_saveexec_b64 s[0:1], s[4:5]
	s_cbranch_execz .LBB32_298
; %bb.297:
	v_lshlrev_b32_e32 v3, 2, v0
	global_load_dword v10, v3, s[14:15] offset:2048
	s_abs_i32 s2, s39
	v_cvt_f32_u32_e32 v3, s2
	s_sub_i32 s3, 0, s2
	v_add_u32_e32 v2, s20, v2
	v_sub_u32_e32 v7, 0, v2
	v_rcp_iflag_f32_e32 v3, v3
	v_max_i32_e32 v7, v2, v7
	v_ashrrev_i32_e32 v2, 31, v2
	v_mul_f32_e32 v3, 0x4f7ffffe, v3
	v_cvt_u32_f32_e32 v3, v3
	v_mul_lo_u32 v4, s3, v3
	v_mul_hi_u32 v4, v3, v4
	v_add_u32_e32 v3, v3, v4
	v_mul_hi_u32 v3, v7, v3
	v_mul_lo_u32 v3, v3, s2
	v_sub_u32_e32 v3, v7, v3
	v_subrev_u32_e32 v4, s2, v3
	v_cmp_le_u32_e32 vcc, s2, v3
	v_cndmask_b32_e32 v3, v3, v4, vcc
	v_subrev_u32_e32 v4, s2, v3
	v_cmp_le_u32_e32 vcc, s2, v3
	v_cndmask_b32_e32 v3, v3, v4, vcc
	v_xor_b32_e32 v3, v3, v2
	v_sub_u32_e32 v2, v3, v2
	v_cmp_gt_i32_e32 vcc, s38, v2
	v_cndmask_b32_e64 v12, 0, 1, vcc
.LBB32_298:
	s_or_b64 exec, exec, s[0:1]
	v_or_b32_e32 v2, 0x280, v0
	v_cmp_gt_u32_e64 s[2:3], s21, v2
	v_mov_b32_e32 v11, 0
	s_and_saveexec_b64 s[0:1], s[2:3]
	s_cbranch_execz .LBB32_300
; %bb.299:
	v_lshlrev_b32_e32 v3, 2, v0
	global_load_dword v6, v3, s[14:15] offset:2560
	s_abs_i32 s18, s39
	v_cvt_f32_u32_e32 v3, s18
	s_sub_i32 s19, 0, s18
	v_add_u32_e32 v2, s20, v2
	v_sub_u32_e32 v7, 0, v2
	v_rcp_iflag_f32_e32 v3, v3
	v_max_i32_e32 v7, v2, v7
	v_ashrrev_i32_e32 v2, 31, v2
	v_mul_f32_e32 v3, 0x4f7ffffe, v3
	v_cvt_u32_f32_e32 v3, v3
	v_mul_lo_u32 v4, s19, v3
	v_mul_hi_u32 v4, v3, v4
	v_add_u32_e32 v3, v3, v4
	v_mul_hi_u32 v3, v7, v3
	v_mul_lo_u32 v3, v3, s18
	v_sub_u32_e32 v3, v7, v3
	v_subrev_u32_e32 v4, s18, v3
	v_cmp_le_u32_e32 vcc, s18, v3
	v_cndmask_b32_e32 v3, v3, v4, vcc
	v_subrev_u32_e32 v4, s18, v3
	v_cmp_le_u32_e32 vcc, s18, v3
	v_cndmask_b32_e32 v3, v3, v4, vcc
	v_xor_b32_e32 v3, v3, v2
	v_sub_u32_e32 v2, v3, v2
	v_cmp_gt_i32_e32 vcc, s38, v2
	v_cndmask_b32_e64 v11, 0, 1, vcc
.LBB32_300:
	s_or_b64 exec, exec, s[0:1]
	v_or_b32_e32 v2, 0x300, v0
	v_cmp_gt_u32_e64 s[0:1], s21, v2
	v_mov_b32_e32 v7, 0
	v_mov_b32_e32 v4, 0
	;; [unrolled: 1-line block ×3, first 2 shown]
	s_and_saveexec_b64 s[18:19], s[0:1]
	s_cbranch_execz .LBB32_302
; %bb.301:
	v_lshlrev_b32_e32 v3, 2, v0
	global_load_dword v7, v3, s[14:15] offset:3072
	s_abs_i32 s22, s39
	v_cvt_f32_u32_e32 v3, s22
	s_sub_i32 s23, 0, s22
	v_add_u32_e32 v2, s20, v2
	v_sub_u32_e32 v18, 0, v2
	v_rcp_iflag_f32_e32 v3, v3
	v_max_i32_e32 v18, v2, v18
	v_ashrrev_i32_e32 v2, 31, v2
	v_mul_f32_e32 v3, 0x4f7ffffe, v3
	v_cvt_u32_f32_e32 v3, v3
	v_mul_lo_u32 v8, s23, v3
	v_mul_hi_u32 v8, v3, v8
	v_add_u32_e32 v3, v3, v8
	v_mul_hi_u32 v3, v18, v3
	v_mul_lo_u32 v3, v3, s22
	v_sub_u32_e32 v3, v18, v3
	v_subrev_u32_e32 v8, s22, v3
	v_cmp_le_u32_e32 vcc, s22, v3
	v_cndmask_b32_e32 v3, v3, v8, vcc
	v_subrev_u32_e32 v8, s22, v3
	v_cmp_le_u32_e32 vcc, s22, v3
	v_cndmask_b32_e32 v3, v3, v8, vcc
	v_xor_b32_e32 v3, v3, v2
	v_sub_u32_e32 v2, v3, v2
	v_cmp_gt_i32_e32 vcc, s38, v2
	v_cndmask_b32_e64 v8, 0, 1, vcc
.LBB32_302:
	s_or_b64 exec, exec, s[18:19]
	v_or_b32_e32 v2, 0x380, v0
	v_cmp_gt_u32_e32 vcc, s21, v2
	v_mov_b32_e32 v3, 0
	s_and_saveexec_b64 s[18:19], vcc
	s_cbranch_execnz .LBB32_487
; %bb.303:
	s_or_b64 exec, exec, s[18:19]
	s_waitcnt vmcnt(0)
	v_mov_b32_e32 v2, v1
	s_and_saveexec_b64 s[18:19], s[12:13]
	s_cbranch_execnz .LBB32_488
.LBB32_304:
	s_or_b64 exec, exec, s[18:19]
	s_and_saveexec_b64 s[14:15], s[10:11]
	s_cbranch_execnz .LBB32_495
.LBB32_305:
	s_or_b64 exec, exec, s[14:15]
	s_and_saveexec_b64 s[12:13], s[8:9]
	s_cbranch_execnz .LBB32_502
.LBB32_306:
	s_or_b64 exec, exec, s[12:13]
	s_and_saveexec_b64 s[10:11], s[4:5]
	s_cbranch_execnz .LBB32_509
.LBB32_307:
	s_or_b64 exec, exec, s[10:11]
	s_and_saveexec_b64 s[8:9], s[2:3]
	s_cbranch_execnz .LBB32_516
.LBB32_308:
	s_or_b64 exec, exec, s[8:9]
	s_and_saveexec_b64 s[4:5], s[0:1]
	s_cbranch_execnz .LBB32_523
.LBB32_309:
	s_or_b64 exec, exec, s[4:5]
	s_and_saveexec_b64 s[2:3], vcc
	s_cbranch_execnz .LBB32_530
	s_branch .LBB32_537
.LBB32_310:
	v_lshlrev_b32_e32 v3, 2, v2
	global_load_dword v3, v3, s[30:31]
	s_abs_i32 s52, s39
	v_cvt_f32_u32_e32 v4, s52
	s_sub_i32 s30, 0, s52
	v_add_u32_e32 v2, s50, v2
	v_sub_u32_e32 v35, 0, v2
	v_rcp_iflag_f32_e32 v4, v4
	v_max_i32_e32 v35, v2, v35
	v_ashrrev_i32_e32 v2, 31, v2
	v_mul_f32_e32 v4, 0x4f7ffffe, v4
	v_cvt_u32_f32_e32 v4, v4
	v_mul_lo_u32 v34, s30, v4
	v_mul_hi_u32 v34, v4, v34
	v_add_u32_e32 v4, v4, v34
	v_mul_hi_u32 v4, v35, v4
	v_mul_lo_u32 v4, v4, s52
	v_sub_u32_e32 v4, v35, v4
	v_subrev_u32_e32 v34, s52, v4
	v_cmp_le_u32_e64 s[30:31], s52, v4
	v_cndmask_b32_e64 v4, v4, v34, s[30:31]
	v_subrev_u32_e32 v34, s52, v4
	v_cmp_le_u32_e64 s[30:31], s52, v4
	v_cndmask_b32_e64 v4, v4, v34, s[30:31]
	v_xor_b32_e32 v4, v4, v2
	v_sub_u32_e32 v2, v4, v2
	v_cmp_gt_i32_e64 s[30:31], s38, v2
	v_cndmask_b32_e64 v4, 0, 1, s[30:31]
	s_or_b64 exec, exec, s[48:49]
	s_waitcnt vmcnt(1)
	v_mov_b32_e32 v2, v1
	s_and_saveexec_b64 s[48:49], s[28:29]
	s_cbranch_execz .LBB32_272
.LBB32_311:
	v_and_b32_e32 v2, 1, v5
	v_cmp_eq_u32_e64 s[28:29], 1, v2
	v_and_b32_e32 v2, 1, v33
	v_cmp_eq_u32_e64 s[30:31], 1, v2
	s_and_b64 s[30:31], s[28:29], s[30:31]
	s_xor_b64 s[30:31], s[30:31], -1
                                        ; implicit-def: $vgpr5
	s_and_saveexec_b64 s[52:53], s[30:31]
	s_xor_b64 s[30:31], exec, s[52:53]
	s_cbranch_execz .LBB32_315
; %bb.312:
	s_xor_b64 s[52:53], s[28:29], -1
	v_mov_b32_e32 v5, 1
	s_and_saveexec_b64 s[28:29], s[52:53]
; %bb.313:
	v_and_b32_e32 v5, 0xffff, v33
	v_mov_b32_e32 v1, v29
; %bb.314:
	s_or_b64 exec, exec, s[28:29]
                                        ; implicit-def: $vgpr29
.LBB32_315:
	s_or_saveexec_b64 s[30:31], s[30:31]
	v_mov_b32_e32 v33, v1
	s_xor_b64 exec, exec, s[30:31]
; %bb.316:
	v_cmp_lt_f32_e64 s[28:29], v29, v1
	v_cndmask_b32_e64 v33, v1, v29, s[28:29]
	v_cmp_lt_f32_e64 s[28:29], v1, v29
	v_cndmask_b32_e64 v1, v1, v29, s[28:29]
	v_mov_b32_e32 v5, 1
; %bb.317:
	s_or_b64 exec, exec, s[30:31]
	v_mov_b32_e32 v2, v1
	v_mov_b32_e32 v1, v33
	s_or_b64 exec, exec, s[48:49]
	s_and_saveexec_b64 s[30:31], s[26:27]
	s_cbranch_execz .LBB32_273
.LBB32_318:
	v_and_b32_e32 v5, 1, v5
	v_cmp_eq_u32_e64 s[26:27], 1, v5
	v_and_b32_e32 v5, 1, v32
	v_cmp_eq_u32_e64 s[28:29], 1, v5
	s_and_b64 s[28:29], s[26:27], s[28:29]
	s_xor_b64 s[28:29], s[28:29], -1
                                        ; implicit-def: $vgpr5
	s_and_saveexec_b64 s[48:49], s[28:29]
	s_xor_b64 s[28:29], exec, s[48:49]
	s_cbranch_execz .LBB32_322
; %bb.319:
	s_xor_b64 s[48:49], s[26:27], -1
	v_mov_b32_e32 v5, 1
	s_and_saveexec_b64 s[26:27], s[48:49]
; %bb.320:
	v_and_b32_e32 v5, 0xffff, v32
	v_mov_b32_e32 v2, v30
	v_mov_b32_e32 v1, v30
; %bb.321:
	s_or_b64 exec, exec, s[26:27]
                                        ; implicit-def: $vgpr30
.LBB32_322:
	s_andn2_saveexec_b64 s[28:29], s[28:29]
; %bb.323:
	v_cmp_lt_f32_e64 s[26:27], v30, v1
	v_cndmask_b32_e64 v1, v1, v30, s[26:27]
	v_cmp_lt_f32_e64 s[26:27], v2, v30
	v_cndmask_b32_e64 v2, v2, v30, s[26:27]
	v_mov_b32_e32 v5, 1
; %bb.324:
	s_or_b64 exec, exec, s[28:29]
	s_or_b64 exec, exec, s[30:31]
	s_and_saveexec_b64 s[28:29], s[24:25]
	s_cbranch_execz .LBB32_274
.LBB32_325:
	v_and_b32_e32 v5, 1, v5
	v_cmp_eq_u32_e64 s[24:25], 1, v5
	v_and_b32_e32 v5, 1, v31
	v_cmp_eq_u32_e64 s[26:27], 1, v5
	s_and_b64 s[26:27], s[24:25], s[26:27]
	s_xor_b64 s[26:27], s[26:27], -1
                                        ; implicit-def: $vgpr5
	s_and_saveexec_b64 s[30:31], s[26:27]
	s_xor_b64 s[26:27], exec, s[30:31]
	s_cbranch_execz .LBB32_329
; %bb.326:
	s_xor_b64 s[30:31], s[24:25], -1
	v_mov_b32_e32 v5, 1
	s_and_saveexec_b64 s[24:25], s[30:31]
; %bb.327:
	v_and_b32_e32 v5, 0xffff, v31
	v_mov_b32_e32 v2, v25
	v_mov_b32_e32 v1, v25
; %bb.328:
	s_or_b64 exec, exec, s[24:25]
                                        ; implicit-def: $vgpr25
.LBB32_329:
	s_andn2_saveexec_b64 s[26:27], s[26:27]
; %bb.330:
	v_cmp_lt_f32_e64 s[24:25], v25, v1
	v_cndmask_b32_e64 v1, v1, v25, s[24:25]
	v_cmp_lt_f32_e64 s[24:25], v2, v25
	v_cndmask_b32_e64 v2, v2, v25, s[24:25]
	v_mov_b32_e32 v5, 1
; %bb.331:
	s_or_b64 exec, exec, s[26:27]
	s_or_b64 exec, exec, s[28:29]
	s_and_saveexec_b64 s[26:27], s[22:23]
	s_cbranch_execz .LBB32_275
.LBB32_332:
	v_and_b32_e32 v5, 1, v5
	v_cmp_eq_u32_e64 s[22:23], 1, v5
	v_and_b32_e32 v5, 1, v28
	v_cmp_eq_u32_e64 s[24:25], 1, v5
	s_and_b64 s[24:25], s[22:23], s[24:25]
	s_xor_b64 s[24:25], s[24:25], -1
                                        ; implicit-def: $vgpr5
	s_and_saveexec_b64 s[28:29], s[24:25]
	s_xor_b64 s[24:25], exec, s[28:29]
	s_cbranch_execz .LBB32_336
; %bb.333:
	s_xor_b64 s[28:29], s[22:23], -1
	v_mov_b32_e32 v5, 1
	s_and_saveexec_b64 s[22:23], s[28:29]
; %bb.334:
	v_and_b32_e32 v5, 0xffff, v28
	v_mov_b32_e32 v2, v26
	v_mov_b32_e32 v1, v26
; %bb.335:
	s_or_b64 exec, exec, s[22:23]
                                        ; implicit-def: $vgpr26
.LBB32_336:
	s_andn2_saveexec_b64 s[24:25], s[24:25]
; %bb.337:
	v_cmp_lt_f32_e64 s[22:23], v26, v1
	v_cndmask_b32_e64 v1, v1, v26, s[22:23]
	v_cmp_lt_f32_e64 s[22:23], v2, v26
	v_cndmask_b32_e64 v2, v2, v26, s[22:23]
	v_mov_b32_e32 v5, 1
; %bb.338:
	s_or_b64 exec, exec, s[24:25]
	s_or_b64 exec, exec, s[26:27]
	s_and_saveexec_b64 s[24:25], s[20:21]
	s_cbranch_execz .LBB32_276
.LBB32_339:
	v_and_b32_e32 v5, 1, v5
	v_cmp_eq_u32_e64 s[20:21], 1, v5
	v_and_b32_e32 v5, 1, v27
	v_cmp_eq_u32_e64 s[22:23], 1, v5
	s_and_b64 s[22:23], s[20:21], s[22:23]
	s_xor_b64 s[22:23], s[22:23], -1
                                        ; implicit-def: $vgpr5
	s_and_saveexec_b64 s[26:27], s[22:23]
	s_xor_b64 s[22:23], exec, s[26:27]
	s_cbranch_execz .LBB32_343
; %bb.340:
	s_xor_b64 s[26:27], s[20:21], -1
	v_mov_b32_e32 v5, 1
	s_and_saveexec_b64 s[20:21], s[26:27]
; %bb.341:
	v_and_b32_e32 v5, 0xffff, v27
	v_mov_b32_e32 v2, v21
	v_mov_b32_e32 v1, v21
; %bb.342:
	s_or_b64 exec, exec, s[20:21]
                                        ; implicit-def: $vgpr21
.LBB32_343:
	s_andn2_saveexec_b64 s[22:23], s[22:23]
; %bb.344:
	v_cmp_lt_f32_e64 s[20:21], v21, v1
	v_cndmask_b32_e64 v1, v1, v21, s[20:21]
	v_cmp_lt_f32_e64 s[20:21], v2, v21
	v_cndmask_b32_e64 v2, v2, v21, s[20:21]
	v_mov_b32_e32 v5, 1
; %bb.345:
	s_or_b64 exec, exec, s[22:23]
	s_or_b64 exec, exec, s[24:25]
	s_and_saveexec_b64 s[22:23], s[18:19]
	s_cbranch_execz .LBB32_277
.LBB32_346:
	v_and_b32_e32 v5, 1, v5
	v_cmp_eq_u32_e64 s[18:19], 1, v5
	v_and_b32_e32 v5, 1, v24
	v_cmp_eq_u32_e64 s[20:21], 1, v5
	s_and_b64 s[20:21], s[18:19], s[20:21]
	s_xor_b64 s[20:21], s[20:21], -1
                                        ; implicit-def: $vgpr5
	s_and_saveexec_b64 s[24:25], s[20:21]
	s_xor_b64 s[20:21], exec, s[24:25]
	s_cbranch_execz .LBB32_350
; %bb.347:
	s_xor_b64 s[24:25], s[18:19], -1
	v_mov_b32_e32 v5, 1
	s_and_saveexec_b64 s[18:19], s[24:25]
; %bb.348:
	v_and_b32_e32 v5, 0xffff, v24
	v_mov_b32_e32 v2, v22
	v_mov_b32_e32 v1, v22
; %bb.349:
	s_or_b64 exec, exec, s[18:19]
                                        ; implicit-def: $vgpr22
.LBB32_350:
	s_andn2_saveexec_b64 s[20:21], s[20:21]
; %bb.351:
	v_cmp_lt_f32_e64 s[18:19], v22, v1
	v_cndmask_b32_e64 v1, v1, v22, s[18:19]
	v_cmp_lt_f32_e64 s[18:19], v2, v22
	v_cndmask_b32_e64 v2, v2, v22, s[18:19]
	v_mov_b32_e32 v5, 1
; %bb.352:
	s_or_b64 exec, exec, s[20:21]
	s_or_b64 exec, exec, s[22:23]
	s_and_saveexec_b64 s[20:21], s[16:17]
	s_cbranch_execz .LBB32_278
.LBB32_353:
	v_and_b32_e32 v5, 1, v5
	v_cmp_eq_u32_e64 s[16:17], 1, v5
	v_and_b32_e32 v5, 1, v23
	v_cmp_eq_u32_e64 s[18:19], 1, v5
	s_and_b64 s[18:19], s[16:17], s[18:19]
	s_xor_b64 s[18:19], s[18:19], -1
                                        ; implicit-def: $vgpr5
	s_and_saveexec_b64 s[22:23], s[18:19]
	s_xor_b64 s[18:19], exec, s[22:23]
	s_cbranch_execz .LBB32_357
; %bb.354:
	s_xor_b64 s[22:23], s[16:17], -1
	v_mov_b32_e32 v5, 1
	s_and_saveexec_b64 s[16:17], s[22:23]
; %bb.355:
	v_and_b32_e32 v5, 0xffff, v23
	v_mov_b32_e32 v2, v17
	v_mov_b32_e32 v1, v17
; %bb.356:
	s_or_b64 exec, exec, s[16:17]
                                        ; implicit-def: $vgpr17
.LBB32_357:
	s_andn2_saveexec_b64 s[18:19], s[18:19]
; %bb.358:
	v_cmp_lt_f32_e64 s[16:17], v17, v1
	v_cndmask_b32_e64 v1, v1, v17, s[16:17]
	v_cmp_lt_f32_e64 s[16:17], v2, v17
	v_cndmask_b32_e64 v2, v2, v17, s[16:17]
	v_mov_b32_e32 v5, 1
; %bb.359:
	s_or_b64 exec, exec, s[18:19]
	s_or_b64 exec, exec, s[20:21]
	s_and_saveexec_b64 s[18:19], s[14:15]
	s_cbranch_execz .LBB32_279
.LBB32_360:
	v_and_b32_e32 v5, 1, v5
	v_cmp_eq_u32_e64 s[14:15], 1, v5
	v_and_b32_e32 v5, 1, v20
	v_cmp_eq_u32_e64 s[16:17], 1, v5
	s_and_b64 s[16:17], s[14:15], s[16:17]
	s_xor_b64 s[16:17], s[16:17], -1
                                        ; implicit-def: $vgpr5
	s_and_saveexec_b64 s[20:21], s[16:17]
	s_xor_b64 s[16:17], exec, s[20:21]
	s_cbranch_execz .LBB32_364
; %bb.361:
	s_xor_b64 s[20:21], s[14:15], -1
	v_mov_b32_e32 v5, 1
	s_and_saveexec_b64 s[14:15], s[20:21]
; %bb.362:
	v_and_b32_e32 v5, 0xffff, v20
	v_mov_b32_e32 v2, v18
	v_mov_b32_e32 v1, v18
; %bb.363:
	s_or_b64 exec, exec, s[14:15]
                                        ; implicit-def: $vgpr18
.LBB32_364:
	s_andn2_saveexec_b64 s[16:17], s[16:17]
; %bb.365:
	v_cmp_lt_f32_e64 s[14:15], v18, v1
	v_cndmask_b32_e64 v1, v1, v18, s[14:15]
	v_cmp_lt_f32_e64 s[14:15], v2, v18
	v_cndmask_b32_e64 v2, v2, v18, s[14:15]
	v_mov_b32_e32 v5, 1
; %bb.366:
	s_or_b64 exec, exec, s[16:17]
	s_or_b64 exec, exec, s[18:19]
	s_and_saveexec_b64 s[16:17], s[12:13]
	s_cbranch_execz .LBB32_280
.LBB32_367:
	v_and_b32_e32 v5, 1, v5
	v_cmp_eq_u32_e64 s[12:13], 1, v5
	v_and_b32_e32 v5, 1, v19
	v_cmp_eq_u32_e64 s[14:15], 1, v5
	s_and_b64 s[14:15], s[12:13], s[14:15]
	s_xor_b64 s[14:15], s[14:15], -1
                                        ; implicit-def: $vgpr5
	s_and_saveexec_b64 s[18:19], s[14:15]
	s_xor_b64 s[14:15], exec, s[18:19]
	s_cbranch_execz .LBB32_371
; %bb.368:
	s_xor_b64 s[18:19], s[12:13], -1
	v_mov_b32_e32 v5, 1
	s_and_saveexec_b64 s[12:13], s[18:19]
; %bb.369:
	v_and_b32_e32 v5, 0xffff, v19
	v_mov_b32_e32 v2, v13
	v_mov_b32_e32 v1, v13
; %bb.370:
	s_or_b64 exec, exec, s[12:13]
                                        ; implicit-def: $vgpr13
.LBB32_371:
	s_andn2_saveexec_b64 s[14:15], s[14:15]
; %bb.372:
	v_cmp_lt_f32_e64 s[12:13], v13, v1
	v_cndmask_b32_e64 v1, v1, v13, s[12:13]
	v_cmp_lt_f32_e64 s[12:13], v2, v13
	v_cndmask_b32_e64 v2, v2, v13, s[12:13]
	v_mov_b32_e32 v5, 1
; %bb.373:
	s_or_b64 exec, exec, s[14:15]
	s_or_b64 exec, exec, s[16:17]
	s_and_saveexec_b64 s[14:15], s[10:11]
	s_cbranch_execz .LBB32_281
.LBB32_374:
	v_and_b32_e32 v5, 1, v5
	v_cmp_eq_u32_e64 s[10:11], 1, v5
	v_and_b32_e32 v5, 1, v16
	v_cmp_eq_u32_e64 s[12:13], 1, v5
	s_and_b64 s[12:13], s[10:11], s[12:13]
	s_xor_b64 s[12:13], s[12:13], -1
                                        ; implicit-def: $vgpr5
	s_and_saveexec_b64 s[16:17], s[12:13]
	s_xor_b64 s[12:13], exec, s[16:17]
	s_cbranch_execz .LBB32_378
; %bb.375:
	s_xor_b64 s[16:17], s[10:11], -1
	v_mov_b32_e32 v5, 1
	s_and_saveexec_b64 s[10:11], s[16:17]
; %bb.376:
	v_and_b32_e32 v5, 0xffff, v16
	v_mov_b32_e32 v2, v14
	v_mov_b32_e32 v1, v14
; %bb.377:
	s_or_b64 exec, exec, s[10:11]
                                        ; implicit-def: $vgpr14
.LBB32_378:
	s_andn2_saveexec_b64 s[12:13], s[12:13]
; %bb.379:
	v_cmp_lt_f32_e64 s[10:11], v14, v1
	v_cndmask_b32_e64 v1, v1, v14, s[10:11]
	v_cmp_lt_f32_e64 s[10:11], v2, v14
	v_cndmask_b32_e64 v2, v2, v14, s[10:11]
	v_mov_b32_e32 v5, 1
; %bb.380:
	s_or_b64 exec, exec, s[12:13]
	s_or_b64 exec, exec, s[14:15]
	s_and_saveexec_b64 s[12:13], s[8:9]
	s_cbranch_execz .LBB32_282
.LBB32_381:
	v_and_b32_e32 v5, 1, v5
	v_cmp_eq_u32_e64 s[8:9], 1, v5
	v_and_b32_e32 v5, 1, v15
	v_cmp_eq_u32_e64 s[10:11], 1, v5
	s_and_b64 s[10:11], s[8:9], s[10:11]
	s_xor_b64 s[10:11], s[10:11], -1
                                        ; implicit-def: $vgpr5
	s_and_saveexec_b64 s[14:15], s[10:11]
	s_xor_b64 s[10:11], exec, s[14:15]
	s_cbranch_execz .LBB32_385
; %bb.382:
	s_xor_b64 s[14:15], s[8:9], -1
	v_mov_b32_e32 v5, 1
	s_and_saveexec_b64 s[8:9], s[14:15]
; %bb.383:
	v_and_b32_e32 v5, 0xffff, v15
	v_mov_b32_e32 v2, v10
	v_mov_b32_e32 v1, v10
; %bb.384:
	s_or_b64 exec, exec, s[8:9]
                                        ; implicit-def: $vgpr10
.LBB32_385:
	s_andn2_saveexec_b64 s[10:11], s[10:11]
; %bb.386:
	v_cmp_lt_f32_e64 s[8:9], v10, v1
	v_cndmask_b32_e64 v1, v1, v10, s[8:9]
	v_cmp_lt_f32_e64 s[8:9], v2, v10
	v_cndmask_b32_e64 v2, v2, v10, s[8:9]
	v_mov_b32_e32 v5, 1
; %bb.387:
	s_or_b64 exec, exec, s[10:11]
	s_or_b64 exec, exec, s[12:13]
	s_and_saveexec_b64 s[10:11], s[4:5]
	s_cbranch_execz .LBB32_283
.LBB32_388:
	v_and_b32_e32 v5, 1, v5
	v_cmp_eq_u32_e64 s[4:5], 1, v5
	v_and_b32_e32 v5, 1, v12
	v_cmp_eq_u32_e64 s[8:9], 1, v5
	s_and_b64 s[8:9], s[4:5], s[8:9]
	s_xor_b64 s[8:9], s[8:9], -1
                                        ; implicit-def: $vgpr5
	s_and_saveexec_b64 s[12:13], s[8:9]
	s_xor_b64 s[8:9], exec, s[12:13]
	s_cbranch_execz .LBB32_392
; %bb.389:
	s_xor_b64 s[12:13], s[4:5], -1
	v_mov_b32_e32 v5, 1
	s_and_saveexec_b64 s[4:5], s[12:13]
; %bb.390:
	v_and_b32_e32 v5, 0xffff, v12
	v_mov_b32_e32 v2, v11
	v_mov_b32_e32 v1, v11
; %bb.391:
	s_or_b64 exec, exec, s[4:5]
                                        ; implicit-def: $vgpr11
.LBB32_392:
	s_andn2_saveexec_b64 s[8:9], s[8:9]
; %bb.393:
	v_cmp_lt_f32_e64 s[4:5], v11, v1
	v_cndmask_b32_e64 v1, v1, v11, s[4:5]
	v_cmp_lt_f32_e64 s[4:5], v2, v11
	v_cndmask_b32_e64 v2, v2, v11, s[4:5]
	v_mov_b32_e32 v5, 1
; %bb.394:
	s_or_b64 exec, exec, s[8:9]
	s_or_b64 exec, exec, s[10:11]
	s_and_saveexec_b64 s[8:9], s[2:3]
	s_cbranch_execz .LBB32_284
.LBB32_395:
	v_and_b32_e32 v5, 1, v5
	v_cmp_eq_u32_e64 s[2:3], 1, v5
	v_and_b32_e32 v5, 1, v8
	v_cmp_eq_u32_e64 s[4:5], 1, v5
	s_and_b64 s[4:5], s[2:3], s[4:5]
	s_xor_b64 s[4:5], s[4:5], -1
                                        ; implicit-def: $vgpr5
	s_and_saveexec_b64 s[10:11], s[4:5]
	s_xor_b64 s[4:5], exec, s[10:11]
	s_cbranch_execz .LBB32_399
; %bb.396:
	s_xor_b64 s[10:11], s[2:3], -1
	v_mov_b32_e32 v5, 1
	s_and_saveexec_b64 s[2:3], s[10:11]
; %bb.397:
	v_and_b32_e32 v5, 0xffff, v8
	v_mov_b32_e32 v2, v7
	v_mov_b32_e32 v1, v7
; %bb.398:
	s_or_b64 exec, exec, s[2:3]
                                        ; implicit-def: $vgpr7
.LBB32_399:
	s_andn2_saveexec_b64 s[4:5], s[4:5]
; %bb.400:
	v_cmp_lt_f32_e64 s[2:3], v7, v1
	v_cndmask_b32_e64 v1, v1, v7, s[2:3]
	v_cmp_lt_f32_e64 s[2:3], v2, v7
	v_cndmask_b32_e64 v2, v2, v7, s[2:3]
	v_mov_b32_e32 v5, 1
; %bb.401:
	s_or_b64 exec, exec, s[4:5]
	s_or_b64 exec, exec, s[8:9]
	s_and_saveexec_b64 s[4:5], s[0:1]
	s_cbranch_execz .LBB32_285
.LBB32_402:
	v_and_b32_e32 v5, 1, v5
	v_cmp_eq_u32_e64 s[0:1], 1, v5
	v_and_b32_e32 v5, 1, v9
	v_cmp_eq_u32_e64 s[2:3], 1, v5
	s_and_b64 s[2:3], s[0:1], s[2:3]
	s_xor_b64 s[2:3], s[2:3], -1
                                        ; implicit-def: $vgpr5
	s_and_saveexec_b64 s[8:9], s[2:3]
	s_xor_b64 s[2:3], exec, s[8:9]
	s_cbranch_execz .LBB32_406
; %bb.403:
	s_xor_b64 s[8:9], s[0:1], -1
	v_mov_b32_e32 v5, 1
	s_and_saveexec_b64 s[0:1], s[8:9]
; %bb.404:
	v_and_b32_e32 v5, 0xffff, v9
	v_mov_b32_e32 v2, v6
	v_mov_b32_e32 v1, v6
; %bb.405:
	s_or_b64 exec, exec, s[0:1]
                                        ; implicit-def: $vgpr6
.LBB32_406:
	s_andn2_saveexec_b64 s[2:3], s[2:3]
; %bb.407:
	v_cmp_lt_f32_e64 s[0:1], v6, v1
	v_cndmask_b32_e64 v1, v1, v6, s[0:1]
	v_cmp_lt_f32_e64 s[0:1], v2, v6
	v_cndmask_b32_e64 v2, v2, v6, s[0:1]
	v_mov_b32_e32 v5, 1
; %bb.408:
	s_or_b64 exec, exec, s[2:3]
	s_or_b64 exec, exec, s[4:5]
	s_and_saveexec_b64 s[2:3], vcc
	s_cbranch_execz .LBB32_416
.LBB32_409:
	v_and_b32_e32 v5, 1, v5
	v_cmp_eq_u32_e32 vcc, 1, v5
	v_and_b32_e32 v5, 1, v4
	v_cmp_eq_u32_e64 s[0:1], 1, v5
	s_and_b64 s[0:1], vcc, s[0:1]
	s_xor_b64 s[0:1], s[0:1], -1
                                        ; implicit-def: $vgpr5
	s_and_saveexec_b64 s[4:5], s[0:1]
	s_xor_b64 s[0:1], exec, s[4:5]
	s_cbranch_execz .LBB32_413
; %bb.410:
	s_xor_b64 s[8:9], vcc, -1
	v_mov_b32_e32 v5, 1
	s_and_saveexec_b64 s[4:5], s[8:9]
	s_cbranch_execz .LBB32_412
; %bb.411:
	v_and_b32_e32 v5, 0xffff, v4
	s_waitcnt vmcnt(0)
	v_mov_b32_e32 v2, v3
	v_mov_b32_e32 v1, v3
.LBB32_412:
	s_or_b64 exec, exec, s[4:5]
                                        ; implicit-def: $vgpr3
.LBB32_413:
	s_andn2_saveexec_b64 s[0:1], s[0:1]
	s_cbranch_execz .LBB32_415
; %bb.414:
	s_waitcnt vmcnt(0)
	v_cmp_lt_f32_e32 vcc, v3, v1
	v_cndmask_b32_e32 v1, v1, v3, vcc
	v_cmp_lt_f32_e32 vcc, v2, v3
	v_cndmask_b32_e32 v2, v2, v3, vcc
	v_mov_b32_e32 v5, 1
.LBB32_415:
	s_or_b64 exec, exec, s[0:1]
.LBB32_416:
	s_or_b64 exec, exec, s[2:3]
	s_waitcnt vmcnt(0)
	v_mbcnt_lo_u32_b32 v3, -1, 0
	v_mbcnt_hi_u32_b32 v3, -1, v3
	v_and_b32_e32 v4, 63, v3
	v_cmp_ne_u32_e32 vcc, 63, v4
	v_addc_co_u32_e32 v6, vcc, 0, v3, vcc
	v_lshlrev_b32_e32 v6, 2, v6
	ds_bpermute_b32 v9, v6, v5
	ds_bpermute_b32 v7, v6, v1
	;; [unrolled: 1-line block ×3, first 2 shown]
	s_min_u32 s8, s51, 0x80
	v_and_b32_e32 v6, 64, v0
	v_sub_u32_e64 v6, s8, v6 clamp
	v_add_u32_e32 v10, 1, v4
	v_cmp_lt_u32_e32 vcc, v10, v6
	s_and_saveexec_b64 s[0:1], vcc
	s_xor_b64 s[0:1], exec, s[0:1]
	s_cbranch_execz .LBB32_424
; %bb.417:
	s_waitcnt lgkmcnt(2)
	v_and_b32_e32 v10, v9, v5
	v_cmp_ne_u32_e32 vcc, 0, v10
	s_and_saveexec_b64 s[2:3], vcc
	s_xor_b64 s[2:3], exec, s[2:3]
	s_cbranch_execz .LBB32_419
; %bb.418:
	s_waitcnt lgkmcnt(1)
	v_cmp_gt_f32_e32 vcc, v1, v7
	v_cndmask_b32_e32 v7, v1, v7, vcc
	s_waitcnt lgkmcnt(0)
	v_cmp_lt_f32_e32 vcc, v2, v8
	v_cndmask_b32_e32 v8, v2, v8, vcc
                                        ; implicit-def: $vgpr2
                                        ; implicit-def: $vgpr9
                                        ; implicit-def: $vgpr5
.LBB32_419:
	s_or_saveexec_b64 s[2:3], s[2:3]
	v_mov_b32_e32 v10, 1
	s_xor_b64 exec, exec, s[2:3]
	s_cbranch_execz .LBB32_423
; %bb.420:
	v_and_b32_e32 v5, 1, v5
	v_cmp_eq_u32_e32 vcc, 1, v5
	s_and_saveexec_b64 s[4:5], vcc
	s_cbranch_execz .LBB32_422
; %bb.421:
	v_mov_b32_e32 v9, 1
	s_waitcnt lgkmcnt(0)
	v_mov_b32_e32 v8, v2
	v_mov_b32_e32 v7, v1
.LBB32_422:
	s_or_b64 exec, exec, s[4:5]
	v_mov_b32_e32 v10, v9
.LBB32_423:
	s_or_b64 exec, exec, s[2:3]
	v_and_b32_e32 v5, 0xff, v10
	s_waitcnt lgkmcnt(1)
	v_mov_b32_e32 v1, v7
	s_waitcnt lgkmcnt(0)
	v_mov_b32_e32 v2, v8
.LBB32_424:
	s_or_b64 exec, exec, s[0:1]
	v_cmp_gt_u32_e32 vcc, 62, v4
	s_waitcnt lgkmcnt(1)
	v_cndmask_b32_e64 v7, 0, 2, vcc
	v_add_lshl_u32 v7, v7, v3, 2
	ds_bpermute_b32 v9, v7, v5
	s_waitcnt lgkmcnt(1)
	ds_bpermute_b32 v8, v7, v1
	ds_bpermute_b32 v7, v7, v2
	v_add_u32_e32 v10, 2, v4
	v_cmp_lt_u32_e32 vcc, v10, v6
	s_and_saveexec_b64 s[0:1], vcc
	s_cbranch_execz .LBB32_432
; %bb.425:
	s_waitcnt lgkmcnt(2)
	v_and_b32_e32 v10, v5, v9
	v_and_b32_e32 v10, 1, v10
	v_cmp_eq_u32_e32 vcc, 1, v10
	s_and_saveexec_b64 s[2:3], vcc
	s_xor_b64 s[2:3], exec, s[2:3]
	s_cbranch_execz .LBB32_427
; %bb.426:
	s_waitcnt lgkmcnt(1)
	v_cmp_gt_f32_e32 vcc, v1, v8
	v_cndmask_b32_e32 v8, v1, v8, vcc
	s_waitcnt lgkmcnt(0)
	v_cmp_lt_f32_e32 vcc, v2, v7
	v_cndmask_b32_e32 v7, v2, v7, vcc
                                        ; implicit-def: $vgpr2
                                        ; implicit-def: $vgpr9
                                        ; implicit-def: $vgpr5
.LBB32_427:
	s_or_saveexec_b64 s[2:3], s[2:3]
	v_mov_b32_e32 v10, 1
	s_xor_b64 exec, exec, s[2:3]
	s_cbranch_execz .LBB32_431
; %bb.428:
	v_and_b32_e32 v5, 1, v5
	v_cmp_eq_u32_e32 vcc, 1, v5
	s_and_saveexec_b64 s[4:5], vcc
	s_cbranch_execz .LBB32_430
; %bb.429:
	v_mov_b32_e32 v9, 1
	s_waitcnt lgkmcnt(0)
	v_mov_b32_e32 v7, v2
	v_mov_b32_e32 v8, v1
.LBB32_430:
	s_or_b64 exec, exec, s[4:5]
	v_mov_b32_e32 v10, v9
.LBB32_431:
	s_or_b64 exec, exec, s[2:3]
	v_and_b32_e32 v5, 0xff, v10
	s_waitcnt lgkmcnt(1)
	v_mov_b32_e32 v1, v8
	s_waitcnt lgkmcnt(0)
	v_mov_b32_e32 v2, v7
.LBB32_432:
	s_or_b64 exec, exec, s[0:1]
	v_cmp_gt_u32_e32 vcc, 60, v4
	s_waitcnt lgkmcnt(0)
	v_cndmask_b32_e64 v7, 0, 4, vcc
	v_add_lshl_u32 v7, v7, v3, 2
	ds_bpermute_b32 v9, v7, v5
	ds_bpermute_b32 v8, v7, v1
	ds_bpermute_b32 v7, v7, v2
	v_add_u32_e32 v10, 4, v4
	v_cmp_lt_u32_e32 vcc, v10, v6
	s_and_saveexec_b64 s[0:1], vcc
	s_cbranch_execz .LBB32_440
; %bb.433:
	s_waitcnt lgkmcnt(2)
	v_and_b32_e32 v10, v5, v9
	v_and_b32_e32 v10, 1, v10
	v_cmp_eq_u32_e32 vcc, 1, v10
	s_and_saveexec_b64 s[2:3], vcc
	s_xor_b64 s[2:3], exec, s[2:3]
	s_cbranch_execz .LBB32_435
; %bb.434:
	s_waitcnt lgkmcnt(1)
	v_cmp_gt_f32_e32 vcc, v1, v8
	v_cndmask_b32_e32 v8, v1, v8, vcc
	s_waitcnt lgkmcnt(0)
	v_cmp_lt_f32_e32 vcc, v2, v7
	v_cndmask_b32_e32 v7, v2, v7, vcc
                                        ; implicit-def: $vgpr2
                                        ; implicit-def: $vgpr9
                                        ; implicit-def: $vgpr5
.LBB32_435:
	s_or_saveexec_b64 s[2:3], s[2:3]
	v_mov_b32_e32 v10, 1
	s_xor_b64 exec, exec, s[2:3]
	s_cbranch_execz .LBB32_439
; %bb.436:
	v_and_b32_e32 v5, 1, v5
	v_cmp_eq_u32_e32 vcc, 1, v5
	s_and_saveexec_b64 s[4:5], vcc
	s_cbranch_execz .LBB32_438
; %bb.437:
	v_mov_b32_e32 v9, 1
	s_waitcnt lgkmcnt(0)
	v_mov_b32_e32 v7, v2
	v_mov_b32_e32 v8, v1
.LBB32_438:
	s_or_b64 exec, exec, s[4:5]
	v_mov_b32_e32 v10, v9
.LBB32_439:
	s_or_b64 exec, exec, s[2:3]
	v_and_b32_e32 v5, 0xff, v10
	s_waitcnt lgkmcnt(1)
	v_mov_b32_e32 v1, v8
	s_waitcnt lgkmcnt(0)
	v_mov_b32_e32 v2, v7
.LBB32_440:
	s_or_b64 exec, exec, s[0:1]
	v_cmp_gt_u32_e32 vcc, 56, v4
	s_waitcnt lgkmcnt(0)
	v_cndmask_b32_e64 v7, 0, 8, vcc
	v_add_lshl_u32 v7, v7, v3, 2
	ds_bpermute_b32 v9, v7, v5
	;; [unrolled: 56-line block ×3, first 2 shown]
	ds_bpermute_b32 v8, v7, v1
	ds_bpermute_b32 v7, v7, v2
	v_add_u32_e32 v10, 16, v4
	v_cmp_lt_u32_e32 vcc, v10, v6
	s_and_saveexec_b64 s[0:1], vcc
	s_cbranch_execz .LBB32_456
; %bb.449:
	s_waitcnt lgkmcnt(2)
	v_and_b32_e32 v10, v5, v9
	v_and_b32_e32 v10, 1, v10
	v_cmp_eq_u32_e32 vcc, 1, v10
	s_and_saveexec_b64 s[2:3], vcc
	s_xor_b64 s[2:3], exec, s[2:3]
	s_cbranch_execz .LBB32_451
; %bb.450:
	s_waitcnt lgkmcnt(1)
	v_cmp_gt_f32_e32 vcc, v1, v8
	v_cndmask_b32_e32 v8, v1, v8, vcc
	s_waitcnt lgkmcnt(0)
	v_cmp_lt_f32_e32 vcc, v2, v7
	v_cndmask_b32_e32 v7, v2, v7, vcc
                                        ; implicit-def: $vgpr2
                                        ; implicit-def: $vgpr9
                                        ; implicit-def: $vgpr5
.LBB32_451:
	s_or_saveexec_b64 s[2:3], s[2:3]
	v_mov_b32_e32 v10, 1
	s_xor_b64 exec, exec, s[2:3]
	s_cbranch_execz .LBB32_455
; %bb.452:
	v_and_b32_e32 v5, 1, v5
	v_cmp_eq_u32_e32 vcc, 1, v5
	s_and_saveexec_b64 s[4:5], vcc
	s_cbranch_execz .LBB32_454
; %bb.453:
	v_mov_b32_e32 v9, 1
	s_waitcnt lgkmcnt(0)
	v_mov_b32_e32 v7, v2
	v_mov_b32_e32 v8, v1
.LBB32_454:
	s_or_b64 exec, exec, s[4:5]
	v_mov_b32_e32 v10, v9
.LBB32_455:
	s_or_b64 exec, exec, s[2:3]
	v_and_b32_e32 v5, 0xff, v10
	s_waitcnt lgkmcnt(1)
	v_mov_b32_e32 v1, v8
	s_waitcnt lgkmcnt(0)
	v_mov_b32_e32 v2, v7
.LBB32_456:
	s_or_b64 exec, exec, s[0:1]
	s_waitcnt lgkmcnt(0)
	v_lshlrev_b32_e32 v7, 2, v3
	v_or_b32_e32 v9, 0x80, v7
	ds_bpermute_b32 v10, v9, v5
	ds_bpermute_b32 v8, v9, v1
	;; [unrolled: 1-line block ×3, first 2 shown]
	v_add_u32_e32 v4, 32, v4
	v_cmp_lt_u32_e32 vcc, v4, v6
	v_mov_b32_e32 v4, v5
	s_and_saveexec_b64 s[0:1], vcc
	s_cbranch_execz .LBB32_464
; %bb.457:
	s_waitcnt lgkmcnt(2)
	v_and_b32_e32 v4, v5, v10
	v_and_b32_e32 v4, 1, v4
	v_cmp_eq_u32_e32 vcc, 1, v4
	s_and_saveexec_b64 s[2:3], vcc
	s_xor_b64 s[2:3], exec, s[2:3]
	s_cbranch_execz .LBB32_459
; %bb.458:
	s_waitcnt lgkmcnt(1)
	v_cmp_gt_f32_e32 vcc, v1, v8
	v_cndmask_b32_e32 v8, v1, v8, vcc
	s_waitcnt lgkmcnt(0)
	v_cmp_lt_f32_e32 vcc, v2, v9
	v_cndmask_b32_e32 v9, v2, v9, vcc
                                        ; implicit-def: $vgpr2
                                        ; implicit-def: $vgpr10
                                        ; implicit-def: $vgpr5
.LBB32_459:
	s_or_saveexec_b64 s[2:3], s[2:3]
	v_mov_b32_e32 v4, 1
	s_xor_b64 exec, exec, s[2:3]
	s_cbranch_execz .LBB32_463
; %bb.460:
	v_and_b32_e32 v4, 1, v5
	v_cmp_eq_u32_e32 vcc, 1, v4
	s_and_saveexec_b64 s[4:5], vcc
	s_cbranch_execz .LBB32_462
; %bb.461:
	v_mov_b32_e32 v10, 1
	s_waitcnt lgkmcnt(0)
	v_mov_b32_e32 v9, v2
	v_mov_b32_e32 v8, v1
.LBB32_462:
	s_or_b64 exec, exec, s[4:5]
	v_mov_b32_e32 v4, v10
.LBB32_463:
	s_or_b64 exec, exec, s[2:3]
	v_and_b32_e32 v5, 0xff, v4
	s_waitcnt lgkmcnt(0)
	v_mov_b32_e32 v2, v9
	v_mov_b32_e32 v1, v8
.LBB32_464:
	s_or_b64 exec, exec, s[0:1]
	v_cmp_eq_u32_e32 vcc, 0, v3
	s_and_saveexec_b64 s[0:1], vcc
	s_cbranch_execz .LBB32_466
; %bb.465:
	v_lshrrev_b32_e32 v6, 6, v0
	v_mul_u32_u24_e32 v6, 12, v6
	ds_write_b8 v6, v4
	ds_write2_b32 v6, v1, v2 offset0:1 offset1:2
.LBB32_466:
	s_or_b64 exec, exec, s[0:1]
	v_cmp_gt_u32_e32 vcc, 2, v0
	s_waitcnt lgkmcnt(0)
	s_barrier
	s_and_saveexec_b64 s[0:1], vcc
	s_cbranch_execz .LBB32_476
; %bb.467:
	v_mul_u32_u24_e32 v1, 12, v3
	ds_read_u8 v8, v1
	ds_read2_b32 v[1:2], v1 offset0:1 offset1:2
	v_or_b32_e32 v6, 4, v7
	s_add_i32 s8, s8, 63
	v_and_b32_e32 v3, 1, v3
	s_waitcnt lgkmcnt(1)
	v_and_b32_e32 v5, 0xff, v8
	s_waitcnt lgkmcnt(0)
	ds_bpermute_b32 v4, v6, v1
	ds_bpermute_b32 v7, v6, v5
	ds_bpermute_b32 v6, v6, v2
	s_lshr_b32 s2, s8, 6
	v_add_u32_e32 v3, 1, v3
	v_cmp_gt_u32_e32 vcc, s2, v3
	s_and_saveexec_b64 s[2:3], vcc
	s_cbranch_execz .LBB32_475
; %bb.468:
	s_waitcnt lgkmcnt(1)
	v_and_b32_e32 v3, v5, v7
	v_and_b32_e32 v3, 1, v3
	v_cmp_eq_u32_e32 vcc, 1, v3
	s_and_saveexec_b64 s[4:5], vcc
	s_xor_b64 s[4:5], exec, s[4:5]
	s_cbranch_execz .LBB32_470
; %bb.469:
	v_cmp_gt_f32_e32 vcc, v1, v4
	v_cndmask_b32_e32 v4, v1, v4, vcc
	s_waitcnt lgkmcnt(0)
	v_cmp_lt_f32_e32 vcc, v2, v6
	v_cndmask_b32_e32 v6, v2, v6, vcc
                                        ; implicit-def: $vgpr2
                                        ; implicit-def: $vgpr7
                                        ; implicit-def: $vgpr8
.LBB32_470:
	s_or_saveexec_b64 s[4:5], s[4:5]
	v_mov_b32_e32 v5, 1
	s_xor_b64 exec, exec, s[4:5]
	s_cbranch_execz .LBB32_474
; %bb.471:
	v_and_b32_e32 v3, 1, v8
	v_cmp_eq_u32_e32 vcc, 1, v3
	s_and_saveexec_b64 s[8:9], vcc
	s_cbranch_execz .LBB32_473
; %bb.472:
	v_mov_b32_e32 v7, 1
	s_waitcnt lgkmcnt(0)
	v_mov_b32_e32 v6, v2
	v_mov_b32_e32 v4, v1
.LBB32_473:
	s_or_b64 exec, exec, s[8:9]
	v_mov_b32_e32 v5, v7
.LBB32_474:
	s_or_b64 exec, exec, s[4:5]
	s_waitcnt lgkmcnt(0)
	v_mov_b32_e32 v2, v6
	v_mov_b32_e32 v1, v4
.LBB32_475:
	s_or_b64 exec, exec, s[2:3]
.LBB32_476:
	s_or_b64 exec, exec, s[0:1]
.LBB32_477:
	v_cmp_eq_u32_e32 vcc, 0, v0
	s_mov_b64 s[16:17], 0
                                        ; implicit-def: $vgpr4
                                        ; implicit-def: $vgpr6
	s_and_saveexec_b64 s[0:1], vcc
	s_xor_b64 s[2:3], exec, s[0:1]
	s_cbranch_execz .LBB32_485
; %bb.478:
	s_cmp_eq_u64 s[40:41], 0
	s_waitcnt lgkmcnt(2)
	v_mov_b32_e32 v4, s35
	v_mov_b32_e32 v3, s34
	s_waitcnt lgkmcnt(0)
	v_mov_b32_e32 v6, s33
	s_cbranch_scc1 .LBB32_484
; %bb.479:
	s_bitcmp1_b32 s33, 0
	v_and_b32_e32 v3, 1, v5
	s_cselect_b64 vcc, -1, 0
	v_cmp_eq_u32_e64 s[0:1], 1, v3
	s_and_b64 s[0:1], vcc, s[0:1]
	s_xor_b64 s[0:1], s[0:1], -1
                                        ; implicit-def: $vgpr4
                                        ; implicit-def: $vgpr6
	s_and_saveexec_b64 s[4:5], s[0:1]
	s_xor_b64 s[0:1], exec, s[4:5]
; %bb.480:
	v_mov_b32_e32 v3, s34
	v_cndmask_b32_e32 v3, v1, v3, vcc
	v_mov_b32_e32 v1, s35
	v_cndmask_b32_e64 v6, v5, 1, vcc
	v_cndmask_b32_e32 v4, v2, v1, vcc
                                        ; implicit-def: $vgpr1
; %bb.481:
	s_andn2_saveexec_b64 s[0:1], s[0:1]
; %bb.482:
	v_mov_b32_e32 v3, s34
	v_cmp_gt_f32_e32 vcc, s34, v1
	v_cndmask_b32_e32 v3, v3, v1, vcc
	v_mov_b32_e32 v1, s35
	v_cmp_lt_f32_e32 vcc, s35, v2
	v_cndmask_b32_e32 v4, v1, v2, vcc
	v_mov_b32_e32 v6, 1
; %bb.483:
	s_or_b64 exec, exec, s[0:1]
.LBB32_484:
	s_mov_b64 s[16:17], exec
.LBB32_485:
	s_or_b64 exec, exec, s[2:3]
	s_and_b64 vcc, exec, s[46:47]
	s_cbranch_vccnz .LBB32_146
.LBB32_486:
	s_branch .LBB32_675
.LBB32_487:
	v_lshlrev_b32_e32 v3, 2, v0
	global_load_dword v3, v3, s[14:15] offset:3584
	s_abs_i32 s22, s39
	v_cvt_f32_u32_e32 v4, s22
	s_sub_i32 s14, 0, s22
	v_add_u32_e32 v2, s20, v2
	v_sub_u32_e32 v19, 0, v2
	v_rcp_iflag_f32_e32 v4, v4
	v_max_i32_e32 v19, v2, v19
	v_ashrrev_i32_e32 v2, 31, v2
	v_mul_f32_e32 v4, 0x4f7ffffe, v4
	v_cvt_u32_f32_e32 v4, v4
	v_mul_lo_u32 v18, s14, v4
	v_mul_hi_u32 v18, v4, v18
	v_add_u32_e32 v4, v4, v18
	v_mul_hi_u32 v4, v19, v4
	v_mul_lo_u32 v4, v4, s22
	v_sub_u32_e32 v4, v19, v4
	v_subrev_u32_e32 v18, s22, v4
	v_cmp_le_u32_e64 s[14:15], s22, v4
	v_cndmask_b32_e64 v4, v4, v18, s[14:15]
	v_subrev_u32_e32 v18, s22, v4
	v_cmp_le_u32_e64 s[14:15], s22, v4
	v_cndmask_b32_e64 v4, v4, v18, s[14:15]
	v_xor_b32_e32 v4, v4, v2
	v_sub_u32_e32 v2, v4, v2
	v_cmp_gt_i32_e64 s[14:15], s38, v2
	v_cndmask_b32_e64 v4, 0, 1, s[14:15]
	s_or_b64 exec, exec, s[18:19]
	s_waitcnt vmcnt(1)
	v_mov_b32_e32 v2, v1
	s_and_saveexec_b64 s[18:19], s[12:13]
	s_cbranch_execz .LBB32_304
.LBB32_488:
	v_and_b32_e32 v2, 1, v5
	v_cmp_eq_u32_e64 s[12:13], 1, v2
	v_and_b32_e32 v2, 1, v17
	v_cmp_eq_u32_e64 s[14:15], 1, v2
	s_and_b64 s[14:15], s[12:13], s[14:15]
	s_xor_b64 s[14:15], s[14:15], -1
                                        ; implicit-def: $vgpr5
	s_and_saveexec_b64 s[22:23], s[14:15]
	s_xor_b64 s[14:15], exec, s[22:23]
	s_cbranch_execz .LBB32_492
; %bb.489:
	s_xor_b64 s[22:23], s[12:13], -1
	v_mov_b32_e32 v5, 1
	s_and_saveexec_b64 s[12:13], s[22:23]
; %bb.490:
	v_and_b32_e32 v5, 0xffff, v17
	v_mov_b32_e32 v1, v13
; %bb.491:
	s_or_b64 exec, exec, s[12:13]
                                        ; implicit-def: $vgpr13
.LBB32_492:
	s_or_saveexec_b64 s[14:15], s[14:15]
	v_mov_b32_e32 v17, v1
	s_xor_b64 exec, exec, s[14:15]
; %bb.493:
	v_cmp_lt_f32_e64 s[12:13], v13, v1
	v_cndmask_b32_e64 v17, v1, v13, s[12:13]
	v_cmp_lt_f32_e64 s[12:13], v1, v13
	v_cndmask_b32_e64 v1, v1, v13, s[12:13]
	v_mov_b32_e32 v5, 1
; %bb.494:
	s_or_b64 exec, exec, s[14:15]
	v_mov_b32_e32 v2, v1
	v_mov_b32_e32 v1, v17
	s_or_b64 exec, exec, s[18:19]
	s_and_saveexec_b64 s[14:15], s[10:11]
	s_cbranch_execz .LBB32_305
.LBB32_495:
	v_and_b32_e32 v5, 1, v5
	v_cmp_eq_u32_e64 s[10:11], 1, v5
	v_and_b32_e32 v5, 1, v16
	v_cmp_eq_u32_e64 s[12:13], 1, v5
	s_and_b64 s[12:13], s[10:11], s[12:13]
	s_xor_b64 s[12:13], s[12:13], -1
                                        ; implicit-def: $vgpr5
	s_and_saveexec_b64 s[18:19], s[12:13]
	s_xor_b64 s[12:13], exec, s[18:19]
	s_cbranch_execz .LBB32_499
; %bb.496:
	s_xor_b64 s[18:19], s[10:11], -1
	v_mov_b32_e32 v5, 1
	s_and_saveexec_b64 s[10:11], s[18:19]
; %bb.497:
	v_and_b32_e32 v5, 0xffff, v16
	v_mov_b32_e32 v2, v14
	v_mov_b32_e32 v1, v14
; %bb.498:
	s_or_b64 exec, exec, s[10:11]
                                        ; implicit-def: $vgpr14
.LBB32_499:
	s_andn2_saveexec_b64 s[12:13], s[12:13]
; %bb.500:
	v_cmp_lt_f32_e64 s[10:11], v14, v1
	v_cndmask_b32_e64 v1, v1, v14, s[10:11]
	v_cmp_lt_f32_e64 s[10:11], v2, v14
	v_cndmask_b32_e64 v2, v2, v14, s[10:11]
	v_mov_b32_e32 v5, 1
; %bb.501:
	s_or_b64 exec, exec, s[12:13]
	s_or_b64 exec, exec, s[14:15]
	s_and_saveexec_b64 s[12:13], s[8:9]
	s_cbranch_execz .LBB32_306
.LBB32_502:
	v_and_b32_e32 v5, 1, v5
	v_cmp_eq_u32_e64 s[8:9], 1, v5
	v_and_b32_e32 v5, 1, v15
	v_cmp_eq_u32_e64 s[10:11], 1, v5
	s_and_b64 s[10:11], s[8:9], s[10:11]
	s_xor_b64 s[10:11], s[10:11], -1
                                        ; implicit-def: $vgpr5
	s_and_saveexec_b64 s[14:15], s[10:11]
	s_xor_b64 s[10:11], exec, s[14:15]
	s_cbranch_execz .LBB32_506
; %bb.503:
	s_xor_b64 s[14:15], s[8:9], -1
	v_mov_b32_e32 v5, 1
	s_and_saveexec_b64 s[8:9], s[14:15]
; %bb.504:
	v_and_b32_e32 v5, 0xffff, v15
	v_mov_b32_e32 v2, v9
	v_mov_b32_e32 v1, v9
; %bb.505:
	s_or_b64 exec, exec, s[8:9]
                                        ; implicit-def: $vgpr9
.LBB32_506:
	s_andn2_saveexec_b64 s[10:11], s[10:11]
; %bb.507:
	v_cmp_lt_f32_e64 s[8:9], v9, v1
	v_cndmask_b32_e64 v1, v1, v9, s[8:9]
	v_cmp_lt_f32_e64 s[8:9], v2, v9
	v_cndmask_b32_e64 v2, v2, v9, s[8:9]
	v_mov_b32_e32 v5, 1
; %bb.508:
	s_or_b64 exec, exec, s[10:11]
	s_or_b64 exec, exec, s[12:13]
	s_and_saveexec_b64 s[10:11], s[4:5]
	s_cbranch_execz .LBB32_307
.LBB32_509:
	v_and_b32_e32 v5, 1, v5
	v_cmp_eq_u32_e64 s[4:5], 1, v5
	v_and_b32_e32 v5, 1, v12
	v_cmp_eq_u32_e64 s[8:9], 1, v5
	s_and_b64 s[8:9], s[4:5], s[8:9]
	s_xor_b64 s[8:9], s[8:9], -1
                                        ; implicit-def: $vgpr5
	s_and_saveexec_b64 s[12:13], s[8:9]
	s_xor_b64 s[8:9], exec, s[12:13]
	s_cbranch_execz .LBB32_513
; %bb.510:
	s_xor_b64 s[12:13], s[4:5], -1
	v_mov_b32_e32 v5, 1
	s_and_saveexec_b64 s[4:5], s[12:13]
; %bb.511:
	v_and_b32_e32 v5, 0xffff, v12
	v_mov_b32_e32 v2, v10
	v_mov_b32_e32 v1, v10
; %bb.512:
	s_or_b64 exec, exec, s[4:5]
                                        ; implicit-def: $vgpr10
.LBB32_513:
	s_andn2_saveexec_b64 s[8:9], s[8:9]
; %bb.514:
	v_cmp_lt_f32_e64 s[4:5], v10, v1
	v_cndmask_b32_e64 v1, v1, v10, s[4:5]
	v_cmp_lt_f32_e64 s[4:5], v2, v10
	v_cndmask_b32_e64 v2, v2, v10, s[4:5]
	v_mov_b32_e32 v5, 1
; %bb.515:
	s_or_b64 exec, exec, s[8:9]
	s_or_b64 exec, exec, s[10:11]
	s_and_saveexec_b64 s[8:9], s[2:3]
	s_cbranch_execz .LBB32_308
.LBB32_516:
	v_and_b32_e32 v5, 1, v5
	v_cmp_eq_u32_e64 s[2:3], 1, v5
	v_and_b32_e32 v5, 1, v11
	v_cmp_eq_u32_e64 s[4:5], 1, v5
	s_and_b64 s[4:5], s[2:3], s[4:5]
	s_xor_b64 s[4:5], s[4:5], -1
                                        ; implicit-def: $vgpr5
	s_and_saveexec_b64 s[10:11], s[4:5]
	s_xor_b64 s[4:5], exec, s[10:11]
	s_cbranch_execz .LBB32_520
; %bb.517:
	s_xor_b64 s[10:11], s[2:3], -1
	v_mov_b32_e32 v5, 1
	s_and_saveexec_b64 s[2:3], s[10:11]
; %bb.518:
	v_and_b32_e32 v5, 0xffff, v11
	v_mov_b32_e32 v2, v6
	v_mov_b32_e32 v1, v6
; %bb.519:
	s_or_b64 exec, exec, s[2:3]
                                        ; implicit-def: $vgpr6
.LBB32_520:
	s_andn2_saveexec_b64 s[4:5], s[4:5]
; %bb.521:
	v_cmp_lt_f32_e64 s[2:3], v6, v1
	v_cndmask_b32_e64 v1, v1, v6, s[2:3]
	v_cmp_lt_f32_e64 s[2:3], v2, v6
	v_cndmask_b32_e64 v2, v2, v6, s[2:3]
	v_mov_b32_e32 v5, 1
; %bb.522:
	s_or_b64 exec, exec, s[4:5]
	s_or_b64 exec, exec, s[8:9]
	s_and_saveexec_b64 s[4:5], s[0:1]
	s_cbranch_execz .LBB32_309
.LBB32_523:
	v_and_b32_e32 v5, 1, v5
	v_cmp_eq_u32_e64 s[0:1], 1, v5
	v_and_b32_e32 v5, 1, v8
	v_cmp_eq_u32_e64 s[2:3], 1, v5
	s_and_b64 s[2:3], s[0:1], s[2:3]
	s_xor_b64 s[2:3], s[2:3], -1
                                        ; implicit-def: $vgpr5
	s_and_saveexec_b64 s[8:9], s[2:3]
	s_xor_b64 s[2:3], exec, s[8:9]
	s_cbranch_execz .LBB32_527
; %bb.524:
	s_xor_b64 s[8:9], s[0:1], -1
	v_mov_b32_e32 v5, 1
	s_and_saveexec_b64 s[0:1], s[8:9]
; %bb.525:
	v_and_b32_e32 v5, 0xffff, v8
	v_mov_b32_e32 v2, v7
	v_mov_b32_e32 v1, v7
; %bb.526:
	s_or_b64 exec, exec, s[0:1]
                                        ; implicit-def: $vgpr7
.LBB32_527:
	s_andn2_saveexec_b64 s[2:3], s[2:3]
; %bb.528:
	v_cmp_lt_f32_e64 s[0:1], v7, v1
	v_cndmask_b32_e64 v1, v1, v7, s[0:1]
	v_cmp_lt_f32_e64 s[0:1], v2, v7
	v_cndmask_b32_e64 v2, v2, v7, s[0:1]
	v_mov_b32_e32 v5, 1
; %bb.529:
	s_or_b64 exec, exec, s[2:3]
	s_or_b64 exec, exec, s[4:5]
	s_and_saveexec_b64 s[2:3], vcc
	s_cbranch_execz .LBB32_537
.LBB32_530:
	v_and_b32_e32 v5, 1, v5
	v_cmp_eq_u32_e32 vcc, 1, v5
	v_and_b32_e32 v5, 1, v4
	v_cmp_eq_u32_e64 s[0:1], 1, v5
	s_and_b64 s[0:1], vcc, s[0:1]
	s_xor_b64 s[0:1], s[0:1], -1
                                        ; implicit-def: $vgpr5
	s_and_saveexec_b64 s[4:5], s[0:1]
	s_xor_b64 s[0:1], exec, s[4:5]
	s_cbranch_execz .LBB32_534
; %bb.531:
	s_xor_b64 s[8:9], vcc, -1
	v_mov_b32_e32 v5, 1
	s_and_saveexec_b64 s[4:5], s[8:9]
	s_cbranch_execz .LBB32_533
; %bb.532:
	v_and_b32_e32 v5, 0xffff, v4
	s_waitcnt vmcnt(0)
	v_mov_b32_e32 v2, v3
	v_mov_b32_e32 v1, v3
.LBB32_533:
	s_or_b64 exec, exec, s[4:5]
                                        ; implicit-def: $vgpr3
.LBB32_534:
	s_andn2_saveexec_b64 s[0:1], s[0:1]
	s_cbranch_execz .LBB32_536
; %bb.535:
	s_waitcnt vmcnt(0)
	v_cmp_lt_f32_e32 vcc, v3, v1
	v_cndmask_b32_e32 v1, v1, v3, vcc
	v_cmp_lt_f32_e32 vcc, v2, v3
	v_cndmask_b32_e32 v2, v2, v3, vcc
	v_mov_b32_e32 v5, 1
.LBB32_536:
	s_or_b64 exec, exec, s[0:1]
.LBB32_537:
	s_or_b64 exec, exec, s[2:3]
	s_waitcnt vmcnt(0)
	v_mbcnt_lo_u32_b32 v3, -1, 0
	v_mbcnt_hi_u32_b32 v3, -1, v3
	v_and_b32_e32 v4, 63, v3
	v_cmp_ne_u32_e32 vcc, 63, v4
	v_addc_co_u32_e32 v6, vcc, 0, v3, vcc
	v_lshlrev_b32_e32 v6, 2, v6
	ds_bpermute_b32 v9, v6, v5
	ds_bpermute_b32 v7, v6, v1
	;; [unrolled: 1-line block ×3, first 2 shown]
	s_min_u32 s8, s21, 0x80
	v_and_b32_e32 v6, 64, v0
	v_sub_u32_e64 v6, s8, v6 clamp
	v_add_u32_e32 v10, 1, v4
	v_cmp_lt_u32_e32 vcc, v10, v6
	s_and_saveexec_b64 s[0:1], vcc
	s_xor_b64 s[0:1], exec, s[0:1]
	s_cbranch_execz .LBB32_545
; %bb.538:
	s_waitcnt lgkmcnt(2)
	v_and_b32_e32 v10, v9, v5
	v_cmp_ne_u32_e32 vcc, 0, v10
	s_and_saveexec_b64 s[2:3], vcc
	s_xor_b64 s[2:3], exec, s[2:3]
	s_cbranch_execz .LBB32_540
; %bb.539:
	s_waitcnt lgkmcnt(1)
	v_cmp_gt_f32_e32 vcc, v1, v7
	v_cndmask_b32_e32 v7, v1, v7, vcc
	s_waitcnt lgkmcnt(0)
	v_cmp_lt_f32_e32 vcc, v2, v8
	v_cndmask_b32_e32 v8, v2, v8, vcc
                                        ; implicit-def: $vgpr2
                                        ; implicit-def: $vgpr9
                                        ; implicit-def: $vgpr5
.LBB32_540:
	s_or_saveexec_b64 s[2:3], s[2:3]
	v_mov_b32_e32 v10, 1
	s_xor_b64 exec, exec, s[2:3]
	s_cbranch_execz .LBB32_544
; %bb.541:
	v_and_b32_e32 v5, 1, v5
	v_cmp_eq_u32_e32 vcc, 1, v5
	s_and_saveexec_b64 s[4:5], vcc
	s_cbranch_execz .LBB32_543
; %bb.542:
	v_mov_b32_e32 v9, 1
	s_waitcnt lgkmcnt(0)
	v_mov_b32_e32 v8, v2
	v_mov_b32_e32 v7, v1
.LBB32_543:
	s_or_b64 exec, exec, s[4:5]
	v_mov_b32_e32 v10, v9
.LBB32_544:
	s_or_b64 exec, exec, s[2:3]
	v_and_b32_e32 v5, 0xff, v10
	s_waitcnt lgkmcnt(1)
	v_mov_b32_e32 v1, v7
	s_waitcnt lgkmcnt(0)
	v_mov_b32_e32 v2, v8
.LBB32_545:
	s_or_b64 exec, exec, s[0:1]
	v_cmp_gt_u32_e32 vcc, 62, v4
	s_waitcnt lgkmcnt(1)
	v_cndmask_b32_e64 v7, 0, 2, vcc
	v_add_lshl_u32 v7, v7, v3, 2
	ds_bpermute_b32 v9, v7, v5
	s_waitcnt lgkmcnt(1)
	ds_bpermute_b32 v8, v7, v1
	ds_bpermute_b32 v7, v7, v2
	v_add_u32_e32 v10, 2, v4
	v_cmp_lt_u32_e32 vcc, v10, v6
	s_and_saveexec_b64 s[0:1], vcc
	s_cbranch_execz .LBB32_553
; %bb.546:
	s_waitcnt lgkmcnt(2)
	v_and_b32_e32 v10, v5, v9
	v_and_b32_e32 v10, 1, v10
	v_cmp_eq_u32_e32 vcc, 1, v10
	s_and_saveexec_b64 s[2:3], vcc
	s_xor_b64 s[2:3], exec, s[2:3]
	s_cbranch_execz .LBB32_548
; %bb.547:
	s_waitcnt lgkmcnt(1)
	v_cmp_gt_f32_e32 vcc, v1, v8
	v_cndmask_b32_e32 v8, v1, v8, vcc
	s_waitcnt lgkmcnt(0)
	v_cmp_lt_f32_e32 vcc, v2, v7
	v_cndmask_b32_e32 v7, v2, v7, vcc
                                        ; implicit-def: $vgpr2
                                        ; implicit-def: $vgpr9
                                        ; implicit-def: $vgpr5
.LBB32_548:
	s_or_saveexec_b64 s[2:3], s[2:3]
	v_mov_b32_e32 v10, 1
	s_xor_b64 exec, exec, s[2:3]
	s_cbranch_execz .LBB32_552
; %bb.549:
	v_and_b32_e32 v5, 1, v5
	v_cmp_eq_u32_e32 vcc, 1, v5
	s_and_saveexec_b64 s[4:5], vcc
	s_cbranch_execz .LBB32_551
; %bb.550:
	v_mov_b32_e32 v9, 1
	s_waitcnt lgkmcnt(0)
	v_mov_b32_e32 v7, v2
	v_mov_b32_e32 v8, v1
.LBB32_551:
	s_or_b64 exec, exec, s[4:5]
	v_mov_b32_e32 v10, v9
.LBB32_552:
	s_or_b64 exec, exec, s[2:3]
	v_and_b32_e32 v5, 0xff, v10
	s_waitcnt lgkmcnt(1)
	v_mov_b32_e32 v1, v8
	s_waitcnt lgkmcnt(0)
	v_mov_b32_e32 v2, v7
.LBB32_553:
	s_or_b64 exec, exec, s[0:1]
	v_cmp_gt_u32_e32 vcc, 60, v4
	s_waitcnt lgkmcnt(0)
	v_cndmask_b32_e64 v7, 0, 4, vcc
	v_add_lshl_u32 v7, v7, v3, 2
	ds_bpermute_b32 v9, v7, v5
	ds_bpermute_b32 v8, v7, v1
	ds_bpermute_b32 v7, v7, v2
	v_add_u32_e32 v10, 4, v4
	v_cmp_lt_u32_e32 vcc, v10, v6
	s_and_saveexec_b64 s[0:1], vcc
	s_cbranch_execz .LBB32_561
; %bb.554:
	s_waitcnt lgkmcnt(2)
	v_and_b32_e32 v10, v5, v9
	v_and_b32_e32 v10, 1, v10
	v_cmp_eq_u32_e32 vcc, 1, v10
	s_and_saveexec_b64 s[2:3], vcc
	s_xor_b64 s[2:3], exec, s[2:3]
	s_cbranch_execz .LBB32_556
; %bb.555:
	s_waitcnt lgkmcnt(1)
	v_cmp_gt_f32_e32 vcc, v1, v8
	v_cndmask_b32_e32 v8, v1, v8, vcc
	s_waitcnt lgkmcnt(0)
	v_cmp_lt_f32_e32 vcc, v2, v7
	v_cndmask_b32_e32 v7, v2, v7, vcc
                                        ; implicit-def: $vgpr2
                                        ; implicit-def: $vgpr9
                                        ; implicit-def: $vgpr5
.LBB32_556:
	s_or_saveexec_b64 s[2:3], s[2:3]
	v_mov_b32_e32 v10, 1
	s_xor_b64 exec, exec, s[2:3]
	s_cbranch_execz .LBB32_560
; %bb.557:
	v_and_b32_e32 v5, 1, v5
	v_cmp_eq_u32_e32 vcc, 1, v5
	s_and_saveexec_b64 s[4:5], vcc
	s_cbranch_execz .LBB32_559
; %bb.558:
	v_mov_b32_e32 v9, 1
	s_waitcnt lgkmcnt(0)
	v_mov_b32_e32 v7, v2
	v_mov_b32_e32 v8, v1
.LBB32_559:
	s_or_b64 exec, exec, s[4:5]
	v_mov_b32_e32 v10, v9
.LBB32_560:
	s_or_b64 exec, exec, s[2:3]
	v_and_b32_e32 v5, 0xff, v10
	s_waitcnt lgkmcnt(1)
	v_mov_b32_e32 v1, v8
	s_waitcnt lgkmcnt(0)
	v_mov_b32_e32 v2, v7
.LBB32_561:
	s_or_b64 exec, exec, s[0:1]
	v_cmp_gt_u32_e32 vcc, 56, v4
	s_waitcnt lgkmcnt(0)
	v_cndmask_b32_e64 v7, 0, 8, vcc
	v_add_lshl_u32 v7, v7, v3, 2
	ds_bpermute_b32 v9, v7, v5
	;; [unrolled: 56-line block ×3, first 2 shown]
	ds_bpermute_b32 v8, v7, v1
	ds_bpermute_b32 v7, v7, v2
	v_add_u32_e32 v10, 16, v4
	v_cmp_lt_u32_e32 vcc, v10, v6
	s_and_saveexec_b64 s[0:1], vcc
	s_cbranch_execz .LBB32_577
; %bb.570:
	s_waitcnt lgkmcnt(2)
	v_and_b32_e32 v10, v5, v9
	v_and_b32_e32 v10, 1, v10
	v_cmp_eq_u32_e32 vcc, 1, v10
	s_and_saveexec_b64 s[2:3], vcc
	s_xor_b64 s[2:3], exec, s[2:3]
	s_cbranch_execz .LBB32_572
; %bb.571:
	s_waitcnt lgkmcnt(1)
	v_cmp_gt_f32_e32 vcc, v1, v8
	v_cndmask_b32_e32 v8, v1, v8, vcc
	s_waitcnt lgkmcnt(0)
	v_cmp_lt_f32_e32 vcc, v2, v7
	v_cndmask_b32_e32 v7, v2, v7, vcc
                                        ; implicit-def: $vgpr2
                                        ; implicit-def: $vgpr9
                                        ; implicit-def: $vgpr5
.LBB32_572:
	s_or_saveexec_b64 s[2:3], s[2:3]
	v_mov_b32_e32 v10, 1
	s_xor_b64 exec, exec, s[2:3]
	s_cbranch_execz .LBB32_576
; %bb.573:
	v_and_b32_e32 v5, 1, v5
	v_cmp_eq_u32_e32 vcc, 1, v5
	s_and_saveexec_b64 s[4:5], vcc
	s_cbranch_execz .LBB32_575
; %bb.574:
	v_mov_b32_e32 v9, 1
	s_waitcnt lgkmcnt(0)
	v_mov_b32_e32 v7, v2
	v_mov_b32_e32 v8, v1
.LBB32_575:
	s_or_b64 exec, exec, s[4:5]
	v_mov_b32_e32 v10, v9
.LBB32_576:
	s_or_b64 exec, exec, s[2:3]
	v_and_b32_e32 v5, 0xff, v10
	s_waitcnt lgkmcnt(1)
	v_mov_b32_e32 v1, v8
	s_waitcnt lgkmcnt(0)
	v_mov_b32_e32 v2, v7
.LBB32_577:
	s_or_b64 exec, exec, s[0:1]
	s_waitcnt lgkmcnt(0)
	v_lshlrev_b32_e32 v7, 2, v3
	v_or_b32_e32 v9, 0x80, v7
	ds_bpermute_b32 v10, v9, v5
	ds_bpermute_b32 v8, v9, v1
	;; [unrolled: 1-line block ×3, first 2 shown]
	v_add_u32_e32 v4, 32, v4
	v_cmp_lt_u32_e32 vcc, v4, v6
	v_mov_b32_e32 v4, v5
	s_and_saveexec_b64 s[0:1], vcc
	s_cbranch_execz .LBB32_585
; %bb.578:
	s_waitcnt lgkmcnt(2)
	v_and_b32_e32 v4, v5, v10
	v_and_b32_e32 v4, 1, v4
	v_cmp_eq_u32_e32 vcc, 1, v4
	s_and_saveexec_b64 s[2:3], vcc
	s_xor_b64 s[2:3], exec, s[2:3]
	s_cbranch_execz .LBB32_580
; %bb.579:
	s_waitcnt lgkmcnt(1)
	v_cmp_gt_f32_e32 vcc, v1, v8
	v_cndmask_b32_e32 v8, v1, v8, vcc
	s_waitcnt lgkmcnt(0)
	v_cmp_lt_f32_e32 vcc, v2, v9
	v_cndmask_b32_e32 v9, v2, v9, vcc
                                        ; implicit-def: $vgpr2
                                        ; implicit-def: $vgpr10
                                        ; implicit-def: $vgpr5
.LBB32_580:
	s_or_saveexec_b64 s[2:3], s[2:3]
	v_mov_b32_e32 v4, 1
	s_xor_b64 exec, exec, s[2:3]
	s_cbranch_execz .LBB32_584
; %bb.581:
	v_and_b32_e32 v4, 1, v5
	v_cmp_eq_u32_e32 vcc, 1, v4
	s_and_saveexec_b64 s[4:5], vcc
	s_cbranch_execz .LBB32_583
; %bb.582:
	v_mov_b32_e32 v10, 1
	s_waitcnt lgkmcnt(0)
	v_mov_b32_e32 v9, v2
	v_mov_b32_e32 v8, v1
.LBB32_583:
	s_or_b64 exec, exec, s[4:5]
	v_mov_b32_e32 v4, v10
.LBB32_584:
	s_or_b64 exec, exec, s[2:3]
	v_and_b32_e32 v5, 0xff, v4
	s_waitcnt lgkmcnt(0)
	v_mov_b32_e32 v2, v9
	v_mov_b32_e32 v1, v8
.LBB32_585:
	s_or_b64 exec, exec, s[0:1]
	v_cmp_eq_u32_e32 vcc, 0, v3
	s_and_saveexec_b64 s[0:1], vcc
	s_cbranch_execz .LBB32_587
; %bb.586:
	v_lshrrev_b32_e32 v6, 6, v0
	v_mul_u32_u24_e32 v6, 12, v6
	ds_write_b8 v6, v4
	ds_write2_b32 v6, v1, v2 offset0:1 offset1:2
.LBB32_587:
	s_or_b64 exec, exec, s[0:1]
	v_cmp_gt_u32_e32 vcc, 2, v0
	s_waitcnt lgkmcnt(0)
	s_barrier
	s_and_saveexec_b64 s[0:1], vcc
	s_cbranch_execz .LBB32_597
; %bb.588:
	v_mul_u32_u24_e32 v1, 12, v3
	ds_read_u8 v8, v1
	ds_read2_b32 v[1:2], v1 offset0:1 offset1:2
	v_or_b32_e32 v6, 4, v7
	s_add_i32 s8, s8, 63
	v_and_b32_e32 v3, 1, v3
	s_waitcnt lgkmcnt(1)
	v_and_b32_e32 v5, 0xff, v8
	s_waitcnt lgkmcnt(0)
	ds_bpermute_b32 v4, v6, v1
	ds_bpermute_b32 v7, v6, v5
	;; [unrolled: 1-line block ×3, first 2 shown]
	s_lshr_b32 s2, s8, 6
	v_add_u32_e32 v3, 1, v3
	v_cmp_gt_u32_e32 vcc, s2, v3
	s_and_saveexec_b64 s[2:3], vcc
	s_cbranch_execz .LBB32_596
; %bb.589:
	s_waitcnt lgkmcnt(1)
	v_and_b32_e32 v3, v5, v7
	v_and_b32_e32 v3, 1, v3
	v_cmp_eq_u32_e32 vcc, 1, v3
	s_and_saveexec_b64 s[4:5], vcc
	s_xor_b64 s[4:5], exec, s[4:5]
	s_cbranch_execz .LBB32_591
; %bb.590:
	v_cmp_gt_f32_e32 vcc, v1, v4
	v_cndmask_b32_e32 v4, v1, v4, vcc
	s_waitcnt lgkmcnt(0)
	v_cmp_lt_f32_e32 vcc, v2, v6
	v_cndmask_b32_e32 v6, v2, v6, vcc
                                        ; implicit-def: $vgpr2
                                        ; implicit-def: $vgpr7
                                        ; implicit-def: $vgpr8
.LBB32_591:
	s_or_saveexec_b64 s[4:5], s[4:5]
	v_mov_b32_e32 v5, 1
	s_xor_b64 exec, exec, s[4:5]
	s_cbranch_execz .LBB32_595
; %bb.592:
	v_and_b32_e32 v3, 1, v8
	v_cmp_eq_u32_e32 vcc, 1, v3
	s_and_saveexec_b64 s[8:9], vcc
	s_cbranch_execz .LBB32_594
; %bb.593:
	v_mov_b32_e32 v7, 1
	s_waitcnt lgkmcnt(0)
	v_mov_b32_e32 v6, v2
	v_mov_b32_e32 v4, v1
.LBB32_594:
	s_or_b64 exec, exec, s[8:9]
	v_mov_b32_e32 v5, v7
.LBB32_595:
	s_or_b64 exec, exec, s[4:5]
	s_waitcnt lgkmcnt(0)
	v_mov_b32_e32 v2, v6
	v_mov_b32_e32 v1, v4
.LBB32_596:
	s_or_b64 exec, exec, s[2:3]
.LBB32_597:
	s_or_b64 exec, exec, s[0:1]
.LBB32_598:
	v_cmp_eq_u32_e32 vcc, 0, v0
                                        ; implicit-def: $vgpr4
                                        ; implicit-def: $vgpr6
	s_and_saveexec_b64 s[0:1], vcc
	s_xor_b64 s[2:3], exec, s[0:1]
	s_cbranch_execz .LBB32_606
; %bb.599:
	s_cmp_eq_u64 s[40:41], 0
	s_waitcnt lgkmcnt(2)
	v_mov_b32_e32 v4, s35
	v_mov_b32_e32 v3, s34
	s_waitcnt lgkmcnt(0)
	v_mov_b32_e32 v6, s33
	s_cbranch_scc1 .LBB32_605
; %bb.600:
	s_bitcmp1_b32 s33, 0
	v_and_b32_e32 v3, 1, v5
	s_cselect_b64 vcc, -1, 0
	v_cmp_eq_u32_e64 s[0:1], 1, v3
	s_and_b64 s[0:1], vcc, s[0:1]
	s_xor_b64 s[0:1], s[0:1], -1
                                        ; implicit-def: $vgpr4
                                        ; implicit-def: $vgpr6
	s_and_saveexec_b64 s[4:5], s[0:1]
	s_xor_b64 s[0:1], exec, s[4:5]
; %bb.601:
	v_mov_b32_e32 v3, s34
	v_cndmask_b32_e32 v3, v1, v3, vcc
	v_mov_b32_e32 v1, s35
	v_cndmask_b32_e64 v6, v5, 1, vcc
	v_cndmask_b32_e32 v4, v2, v1, vcc
                                        ; implicit-def: $vgpr1
; %bb.602:
	s_andn2_saveexec_b64 s[0:1], s[0:1]
; %bb.603:
	v_mov_b32_e32 v3, s34
	v_cmp_gt_f32_e32 vcc, s34, v1
	v_cndmask_b32_e32 v3, v3, v1, vcc
	v_mov_b32_e32 v1, s35
	v_cmp_lt_f32_e32 vcc, s35, v2
	v_cndmask_b32_e32 v4, v1, v2, vcc
	v_mov_b32_e32 v6, 1
; %bb.604:
	s_or_b64 exec, exec, s[0:1]
.LBB32_605:
	s_or_b64 s[16:17], s[16:17], exec
.LBB32_606:
	s_or_b64 exec, exec, s[2:3]
	s_branch .LBB32_675
.LBB32_607:
	s_cmp_eq_u32 s44, 4
	s_cbranch_scc0 .LBB32_674
; %bb.608:
	s_mov_b32 s7, 0
	s_lshl_b32 s8, s6, 9
	s_mov_b32 s9, s7
	s_lshr_b64 s[0:1], s[40:41], 9
	s_add_i32 s14, s45, s8
	s_lshl_b64 s[2:3], s[8:9], 2
	s_add_u32 s4, s36, s2
	s_addc_u32 s5, s37, s3
	s_cmp_lg_u64 s[0:1], s[6:7]
	s_cbranch_scc0 .LBB32_676
; %bb.609:
	s_waitcnt lgkmcnt(1)
	v_lshlrev_b32_e32 v1, 2, v0
	global_load_dword v4, v1, s[4:5]
	global_load_dword v9, v1, s[4:5] offset:512
	s_waitcnt lgkmcnt(0)
	global_load_dword v6, v1, s[4:5] offset:1024
	global_load_dword v5, v1, s[4:5] offset:1536
	s_abs_i32 s9, s39
	v_cvt_f32_u32_e32 v1, s9
	s_sub_i32 s0, 0, s9
	v_add_u32_e32 v7, s14, v0
	v_sub_u32_e32 v3, 0, v7
	v_rcp_iflag_f32_e32 v1, v1
	v_max_i32_e32 v3, v7, v3
	v_add_u32_e32 v10, 0x80, v7
	v_sub_u32_e32 v11, 0xffffff80, v7
	v_mul_f32_e32 v1, 0x4f7ffffe, v1
	v_cvt_u32_f32_e32 v1, v1
	v_max_i32_e32 v11, v10, v11
	v_ashrrev_i32_e32 v8, 31, v7
	v_mul_lo_u32 v2, s0, v1
	v_mul_hi_u32 v2, v1, v2
	v_add_u32_e32 v1, v1, v2
	v_mul_hi_u32 v2, v3, v1
	v_mul_hi_u32 v12, v11, v1
	v_mul_lo_u32 v2, v2, s9
	v_sub_u32_e32 v2, v3, v2
	v_subrev_u32_e32 v3, s9, v2
	v_cmp_le_u32_e32 vcc, s9, v2
	v_cndmask_b32_e32 v2, v2, v3, vcc
	v_subrev_u32_e32 v3, s9, v2
	v_cmp_le_u32_e32 vcc, s9, v2
	v_cndmask_b32_e32 v2, v2, v3, vcc
	v_mul_lo_u32 v3, v12, s9
	v_xor_b32_e32 v2, v2, v8
	v_sub_u32_e32 v2, v2, v8
	v_cmp_le_i32_e32 vcc, s38, v2
	v_sub_u32_e32 v3, v11, v3
	v_subrev_u32_e32 v8, s9, v3
	v_cmp_le_u32_e64 s[0:1], s9, v3
	v_cndmask_b32_e64 v3, v3, v8, s[0:1]
	v_subrev_u32_e32 v8, s9, v3
	v_cmp_le_u32_e64 s[0:1], s9, v3
	v_ashrrev_i32_e32 v2, 31, v10
	v_cndmask_b32_e64 v3, v3, v8, s[0:1]
	v_xor_b32_e32 v3, v3, v2
	v_sub_u32_e32 v2, v3, v2
	v_cmp_gt_i32_e64 s[0:1], s38, v2
	v_cmp_le_i32_e64 s[2:3], s38, v2
	v_add_u32_e32 v11, 0x100, v7
	v_sub_u32_e32 v2, 0xffffff00, v7
	v_max_i32_e32 v10, v11, v2
	v_mad_u64_u32 v[2:3], s[10:11], v10, v1, 0
	v_add_u32_e32 v8, 0x180, v7
	v_sub_u32_e32 v2, 0xfffffe80, v7
	v_max_i32_e32 v7, v8, v2
	s_or_b64 s[10:11], vcc, s[2:3]
                                        ; implicit-def: $sgpr2_sgpr3
	s_and_saveexec_b64 s[12:13], s[10:11]
	s_xor_b64 s[10:11], exec, s[12:13]
	s_cbranch_execz .LBB32_613
; %bb.610:
	s_mov_b64 s[2:3], -1
	s_and_saveexec_b64 s[12:13], vcc
	s_cbranch_execz .LBB32_612
; %bb.611:
	s_orn2_b64 s[2:3], s[0:1], exec
	s_waitcnt vmcnt(2)
	v_mov_b32_e32 v4, v9
.LBB32_612:
	s_or_b64 exec, exec, s[12:13]
                                        ; implicit-def: $vgpr9
.LBB32_613:
	s_or_saveexec_b64 s[0:1], s[10:11]
	v_mad_u64_u32 v[1:2], s[10:11], v7, v1, 0
	v_ashrrev_i32_e32 v11, 31, v11
	s_waitcnt vmcnt(3)
	v_mov_b32_e32 v1, v4
	s_xor_b64 exec, exec, s[0:1]
	s_cbranch_execz .LBB32_615
; %bb.614:
	s_waitcnt vmcnt(2)
	v_cmp_lt_f32_e32 vcc, v9, v4
	v_cndmask_b32_e32 v12, v4, v9, vcc
	v_cmp_lt_f32_e32 vcc, v4, v9
	v_cndmask_b32_e32 v1, v4, v9, vcc
	s_or_b64 s[2:3], s[2:3], exec
	v_mov_b32_e32 v4, v12
.LBB32_615:
	s_or_b64 exec, exec, s[0:1]
	v_mul_lo_u32 v3, v3, s9
	s_mov_b64 s[0:1], -1
	v_sub_u32_e32 v3, v10, v3
	s_waitcnt vmcnt(2)
	v_subrev_u32_e32 v9, s9, v3
	v_cmp_le_u32_e32 vcc, s9, v3
	v_cndmask_b32_e32 v3, v3, v9, vcc
	v_subrev_u32_e32 v9, s9, v3
	v_cmp_le_u32_e32 vcc, s9, v3
	v_cndmask_b32_e32 v3, v3, v9, vcc
	v_xor_b32_e32 v3, v3, v11
	v_sub_u32_e32 v3, v3, v11
	v_cmp_gt_i32_e32 vcc, s38, v3
	s_and_b64 s[10:11], vcc, s[2:3]
	s_xor_b64 s[10:11], s[10:11], -1
	s_and_saveexec_b64 s[12:13], s[10:11]
	s_xor_b64 s[10:11], exec, s[12:13]
	s_cbranch_execz .LBB32_619
; %bb.616:
	s_xor_b64 s[12:13], s[2:3], -1
	s_and_saveexec_b64 s[2:3], s[12:13]
	s_cbranch_execz .LBB32_618
; %bb.617:
	s_orn2_b64 s[0:1], vcc, exec
	s_waitcnt vmcnt(1)
	v_mov_b32_e32 v1, v6
	v_mov_b32_e32 v4, v6
.LBB32_618:
	s_or_b64 exec, exec, s[2:3]
                                        ; implicit-def: $vgpr6
.LBB32_619:
	s_or_saveexec_b64 s[2:3], s[10:11]
	v_ashrrev_i32_e32 v3, 31, v8
	s_xor_b64 exec, exec, s[2:3]
	s_cbranch_execz .LBB32_621
; %bb.620:
	s_waitcnt vmcnt(1)
	v_cmp_lt_f32_e32 vcc, v6, v4
	v_cndmask_b32_e32 v4, v4, v6, vcc
	v_cmp_lt_f32_e32 vcc, v1, v6
	v_cndmask_b32_e32 v1, v1, v6, vcc
	s_or_b64 s[0:1], s[0:1], exec
.LBB32_621:
	s_or_b64 exec, exec, s[2:3]
	v_mul_lo_u32 v2, v2, s9
	v_sub_u32_e32 v2, v7, v2
	s_waitcnt vmcnt(1)
	v_subrev_u32_e32 v6, s9, v2
	v_cmp_le_u32_e32 vcc, s9, v2
	v_cndmask_b32_e32 v2, v2, v6, vcc
	v_subrev_u32_e32 v6, s9, v2
	v_cmp_le_u32_e32 vcc, s9, v2
	v_cndmask_b32_e32 v2, v2, v6, vcc
	v_xor_b32_e32 v2, v2, v3
	v_sub_u32_e32 v2, v2, v3
	v_cmp_gt_i32_e32 vcc, s38, v2
	s_and_b64 s[2:3], vcc, s[0:1]
	s_xor_b64 s[2:3], s[2:3], -1
                                        ; implicit-def: $vgpr6
	s_and_saveexec_b64 s[10:11], s[2:3]
	s_xor_b64 s[2:3], exec, s[10:11]
	s_cbranch_execz .LBB32_625
; %bb.622:
	s_xor_b64 s[10:11], s[0:1], -1
	v_mov_b32_e32 v6, 1
	s_and_saveexec_b64 s[0:1], s[10:11]
	s_cbranch_execz .LBB32_624
; %bb.623:
	v_cndmask_b32_e64 v6, 0, 1, vcc
	s_waitcnt vmcnt(0)
	v_mov_b32_e32 v1, v5
	v_mov_b32_e32 v4, v5
.LBB32_624:
	s_or_b64 exec, exec, s[0:1]
                                        ; implicit-def: $vgpr5
.LBB32_625:
	s_andn2_saveexec_b64 s[0:1], s[2:3]
	s_cbranch_execz .LBB32_627
; %bb.626:
	s_waitcnt vmcnt(0)
	v_cmp_lt_f32_e32 vcc, v5, v4
	v_cndmask_b32_e32 v4, v4, v5, vcc
	v_cmp_lt_f32_e32 vcc, v1, v5
	v_cndmask_b32_e32 v1, v1, v5, vcc
	v_mov_b32_e32 v6, 1
.LBB32_627:
	s_or_b64 exec, exec, s[0:1]
	v_and_b32_e32 v7, 0xff, v6
	v_mov_b32_dpp v2, v4 quad_perm:[1,0,3,2] row_mask:0xf bank_mask:0xf bound_ctrl:1
	v_mov_b32_dpp v3, v1 quad_perm:[1,0,3,2] row_mask:0xf bank_mask:0xf bound_ctrl:1
	s_waitcnt vmcnt(0)
	v_mov_b32_dpp v5, v7 quad_perm:[1,0,3,2] row_mask:0xf bank_mask:0xf bound_ctrl:1
	v_and_b32_e32 v5, 1, v5
	v_cmp_eq_u32_e32 vcc, 1, v5
	v_and_b32_e32 v5, 1, v6
	v_cmp_eq_u32_e64 s[0:1], 1, v5
	s_and_b64 s[0:1], vcc, s[0:1]
	s_xor_b64 s[0:1], s[0:1], -1
                                        ; implicit-def: $vgpr5
	s_and_saveexec_b64 s[2:3], s[0:1]
	s_xor_b64 s[0:1], exec, s[2:3]
	s_cbranch_execz .LBB32_631
; %bb.628:
	s_xor_b64 s[10:11], vcc, -1
	v_mov_b32_e32 v5, 1
	s_and_saveexec_b64 s[2:3], s[10:11]
; %bb.629:
	v_mov_b32_e32 v3, v1
	v_mov_b32_e32 v2, v4
	;; [unrolled: 1-line block ×3, first 2 shown]
; %bb.630:
	s_or_b64 exec, exec, s[2:3]
                                        ; implicit-def: $vgpr4
                                        ; implicit-def: $vgpr1
.LBB32_631:
	s_andn2_saveexec_b64 s[0:1], s[0:1]
; %bb.632:
	v_cmp_lt_f32_e32 vcc, v4, v2
	v_cndmask_b32_e32 v2, v2, v4, vcc
	v_cmp_gt_f32_e32 vcc, v1, v3
	v_cndmask_b32_e32 v3, v3, v1, vcc
	v_mov_b32_e32 v5, 1
; %bb.633:
	s_or_b64 exec, exec, s[0:1]
	s_nop 0
	v_mov_b32_dpp v6, v5 quad_perm:[2,3,0,1] row_mask:0xf bank_mask:0xf bound_ctrl:1
	v_and_b32_e32 v7, 1, v6
	v_and_b32_e32 v6, v6, v5
	;; [unrolled: 1-line block ×3, first 2 shown]
	v_mov_b32_dpp v1, v2 quad_perm:[2,3,0,1] row_mask:0xf bank_mask:0xf bound_ctrl:1
	v_mov_b32_dpp v4, v3 quad_perm:[2,3,0,1] row_mask:0xf bank_mask:0xf bound_ctrl:1
	v_cmp_ne_u32_e32 vcc, 1, v7
	v_cmp_ne_u32_e64 s[0:1], 1, v6
                                        ; implicit-def: $vgpr6
	s_and_saveexec_b64 s[2:3], s[0:1]
	s_xor_b64 s[0:1], exec, s[2:3]
	s_cbranch_execz .LBB32_637
; %bb.634:
	v_mov_b32_e32 v6, 1
	s_and_saveexec_b64 s[2:3], vcc
; %bb.635:
	v_mov_b32_e32 v4, v3
	v_mov_b32_e32 v1, v2
	;; [unrolled: 1-line block ×3, first 2 shown]
; %bb.636:
	s_or_b64 exec, exec, s[2:3]
                                        ; implicit-def: $vgpr2
                                        ; implicit-def: $vgpr3
.LBB32_637:
	s_andn2_saveexec_b64 s[0:1], s[0:1]
; %bb.638:
	v_cmp_lt_f32_e32 vcc, v2, v1
	v_cndmask_b32_e32 v1, v1, v2, vcc
	v_cmp_gt_f32_e32 vcc, v3, v4
	v_cndmask_b32_e32 v4, v4, v3, vcc
	v_mov_b32_e32 v6, 1
; %bb.639:
	s_or_b64 exec, exec, s[0:1]
	s_nop 0
	v_mov_b32_dpp v5, v6 row_ror:4 row_mask:0xf bank_mask:0xf bound_ctrl:1
	v_and_b32_e32 v7, 1, v5
	v_and_b32_e32 v5, v5, v6
	;; [unrolled: 1-line block ×3, first 2 shown]
	v_mov_b32_dpp v2, v1 row_ror:4 row_mask:0xf bank_mask:0xf bound_ctrl:1
	v_mov_b32_dpp v3, v4 row_ror:4 row_mask:0xf bank_mask:0xf bound_ctrl:1
	v_cmp_ne_u32_e32 vcc, 1, v7
	v_cmp_ne_u32_e64 s[0:1], 1, v5
                                        ; implicit-def: $vgpr5
	s_and_saveexec_b64 s[2:3], s[0:1]
	s_xor_b64 s[0:1], exec, s[2:3]
	s_cbranch_execz .LBB32_643
; %bb.640:
	v_mov_b32_e32 v5, 1
	s_and_saveexec_b64 s[2:3], vcc
; %bb.641:
	v_mov_b32_e32 v3, v4
	v_mov_b32_e32 v2, v1
	;; [unrolled: 1-line block ×3, first 2 shown]
; %bb.642:
	s_or_b64 exec, exec, s[2:3]
                                        ; implicit-def: $vgpr1
                                        ; implicit-def: $vgpr4
.LBB32_643:
	s_andn2_saveexec_b64 s[0:1], s[0:1]
; %bb.644:
	v_cmp_lt_f32_e32 vcc, v1, v2
	v_cndmask_b32_e32 v2, v2, v1, vcc
	v_cmp_gt_f32_e32 vcc, v4, v3
	v_cndmask_b32_e32 v3, v3, v4, vcc
	v_mov_b32_e32 v5, 1
; %bb.645:
	s_or_b64 exec, exec, s[0:1]
	s_nop 0
	v_mov_b32_dpp v6, v5 row_ror:8 row_mask:0xf bank_mask:0xf bound_ctrl:1
	v_and_b32_e32 v7, 1, v6
	v_and_b32_e32 v6, v6, v5
	;; [unrolled: 1-line block ×3, first 2 shown]
	v_mov_b32_dpp v1, v2 row_ror:8 row_mask:0xf bank_mask:0xf bound_ctrl:1
	v_mov_b32_dpp v4, v3 row_ror:8 row_mask:0xf bank_mask:0xf bound_ctrl:1
	v_cmp_ne_u32_e32 vcc, 1, v7
	v_cmp_ne_u32_e64 s[0:1], 1, v6
                                        ; implicit-def: $vgpr6
	s_and_saveexec_b64 s[2:3], s[0:1]
	s_xor_b64 s[0:1], exec, s[2:3]
	s_cbranch_execz .LBB32_649
; %bb.646:
	v_mov_b32_e32 v6, 1
	s_and_saveexec_b64 s[2:3], vcc
; %bb.647:
	v_mov_b32_e32 v4, v3
	v_mov_b32_e32 v1, v2
	;; [unrolled: 1-line block ×3, first 2 shown]
; %bb.648:
	s_or_b64 exec, exec, s[2:3]
                                        ; implicit-def: $vgpr2
                                        ; implicit-def: $vgpr3
.LBB32_649:
	s_andn2_saveexec_b64 s[0:1], s[0:1]
; %bb.650:
	v_cmp_lt_f32_e32 vcc, v2, v1
	v_cndmask_b32_e32 v1, v1, v2, vcc
	v_cmp_gt_f32_e32 vcc, v3, v4
	v_cndmask_b32_e32 v4, v4, v3, vcc
	v_mov_b32_e32 v6, 1
; %bb.651:
	s_or_b64 exec, exec, s[0:1]
	s_nop 0
	v_mov_b32_dpp v5, v6 row_bcast:15 row_mask:0xf bank_mask:0xf bound_ctrl:1
	v_and_b32_e32 v7, 1, v5
	v_and_b32_e32 v5, v5, v6
	;; [unrolled: 1-line block ×3, first 2 shown]
	v_mov_b32_dpp v2, v1 row_bcast:15 row_mask:0xf bank_mask:0xf bound_ctrl:1
	v_mov_b32_dpp v3, v4 row_bcast:15 row_mask:0xf bank_mask:0xf bound_ctrl:1
	v_cmp_ne_u32_e32 vcc, 1, v7
	v_cmp_ne_u32_e64 s[0:1], 1, v5
                                        ; implicit-def: $vgpr5
	s_and_saveexec_b64 s[2:3], s[0:1]
	s_xor_b64 s[0:1], exec, s[2:3]
	s_cbranch_execz .LBB32_655
; %bb.652:
	v_mov_b32_e32 v5, 1
	s_and_saveexec_b64 s[2:3], vcc
; %bb.653:
	v_mov_b32_e32 v3, v4
	v_mov_b32_e32 v2, v1
	;; [unrolled: 1-line block ×3, first 2 shown]
; %bb.654:
	s_or_b64 exec, exec, s[2:3]
                                        ; implicit-def: $vgpr1
                                        ; implicit-def: $vgpr4
.LBB32_655:
	s_andn2_saveexec_b64 s[0:1], s[0:1]
; %bb.656:
	v_cmp_lt_f32_e32 vcc, v1, v2
	v_cndmask_b32_e32 v2, v2, v1, vcc
	v_cmp_gt_f32_e32 vcc, v4, v3
	v_cndmask_b32_e32 v3, v3, v4, vcc
	v_mov_b32_e32 v5, 1
; %bb.657:
	s_or_b64 exec, exec, s[0:1]
	s_nop 0
	v_mov_b32_dpp v6, v5 row_bcast:31 row_mask:0xf bank_mask:0xf bound_ctrl:1
	v_and_b32_e32 v7, 1, v6
	v_and_b32_e32 v6, v6, v5
	;; [unrolled: 1-line block ×3, first 2 shown]
	v_mov_b32_dpp v1, v2 row_bcast:31 row_mask:0xf bank_mask:0xf bound_ctrl:1
	v_mov_b32_dpp v4, v3 row_bcast:31 row_mask:0xf bank_mask:0xf bound_ctrl:1
	v_cmp_ne_u32_e32 vcc, 1, v7
	v_cmp_ne_u32_e64 s[0:1], 1, v6
                                        ; implicit-def: $vgpr6
	s_and_saveexec_b64 s[2:3], s[0:1]
	s_xor_b64 s[0:1], exec, s[2:3]
	s_cbranch_execz .LBB32_661
; %bb.658:
	v_mov_b32_e32 v6, 1
	s_and_saveexec_b64 s[2:3], vcc
; %bb.659:
	v_mov_b32_e32 v4, v3
	v_mov_b32_e32 v1, v2
	;; [unrolled: 1-line block ×3, first 2 shown]
; %bb.660:
	s_or_b64 exec, exec, s[2:3]
                                        ; implicit-def: $vgpr2
                                        ; implicit-def: $vgpr3
.LBB32_661:
	s_andn2_saveexec_b64 s[0:1], s[0:1]
; %bb.662:
	v_cmp_lt_f32_e32 vcc, v2, v1
	v_cndmask_b32_e32 v1, v1, v2, vcc
	v_cmp_gt_f32_e32 vcc, v3, v4
	v_cndmask_b32_e32 v4, v4, v3, vcc
	v_mov_b32_e32 v6, 1
; %bb.663:
	s_or_b64 exec, exec, s[0:1]
	v_mbcnt_lo_u32_b32 v2, -1, 0
	v_mbcnt_hi_u32_b32 v3, -1, v2
	v_lshlrev_b32_e32 v8, 2, v3
	v_or_b32_e32 v2, 0xfc, v8
	ds_bpermute_b32 v5, v2, v6
	ds_bpermute_b32 v1, v2, v1
	;; [unrolled: 1-line block ×3, first 2 shown]
	v_cmp_eq_u32_e32 vcc, 0, v3
	s_and_saveexec_b64 s[0:1], vcc
	s_cbranch_execz .LBB32_665
; %bb.664:
	v_lshrrev_b32_e32 v4, 6, v0
	v_mul_u32_u24_e32 v4, 12, v4
	s_waitcnt lgkmcnt(2)
	ds_write_b8 v4, v5 offset:128
	s_waitcnt lgkmcnt(1)
	ds_write2_b32 v4, v1, v2 offset0:33 offset1:34
.LBB32_665:
	s_or_b64 exec, exec, s[0:1]
	v_cmp_gt_u32_e32 vcc, 64, v0
	s_waitcnt lgkmcnt(0)
	s_barrier
	s_and_saveexec_b64 s[0:1], vcc
	s_cbranch_execz .LBB32_673
; %bb.666:
	v_and_b32_e32 v1, 1, v3
	v_mul_u32_u24_e32 v1, 12, v1
	ds_read_u8 v7, v1 offset:128
	ds_read2_b32 v[3:4], v1 offset0:33 offset1:34
	v_or_b32_e32 v2, 4, v8
	s_waitcnt lgkmcnt(1)
	v_and_b32_e32 v1, 0xff, v7
	ds_bpermute_b32 v6, v2, v1
	s_waitcnt lgkmcnt(1)
	ds_bpermute_b32 v1, v2, v3
	ds_bpermute_b32 v2, v2, v4
	s_waitcnt lgkmcnt(2)
	v_and_b32_e32 v5, v7, v6
	v_and_b32_e32 v5, 1, v5
	v_cmp_eq_u32_e32 vcc, 1, v5
	s_and_saveexec_b64 s[2:3], vcc
	s_xor_b64 s[2:3], exec, s[2:3]
	s_cbranch_execz .LBB32_668
; %bb.667:
	s_waitcnt lgkmcnt(1)
	v_cmp_gt_f32_e32 vcc, v3, v1
	v_cndmask_b32_e32 v1, v3, v1, vcc
	s_waitcnt lgkmcnt(0)
	v_cmp_lt_f32_e32 vcc, v4, v2
	v_cndmask_b32_e32 v2, v4, v2, vcc
                                        ; implicit-def: $vgpr4
                                        ; implicit-def: $vgpr6
                                        ; implicit-def: $vgpr7
.LBB32_668:
	s_or_saveexec_b64 s[2:3], s[2:3]
	v_mov_b32_e32 v5, 1
	s_xor_b64 exec, exec, s[2:3]
	s_cbranch_execz .LBB32_672
; %bb.669:
	v_and_b32_e32 v5, 1, v7
	v_cmp_eq_u32_e32 vcc, 1, v5
	s_and_saveexec_b64 s[10:11], vcc
	s_cbranch_execz .LBB32_671
; %bb.670:
	v_mov_b32_e32 v6, 1
	s_waitcnt lgkmcnt(0)
	v_mov_b32_e32 v2, v4
	v_mov_b32_e32 v1, v3
.LBB32_671:
	s_or_b64 exec, exec, s[10:11]
	v_mov_b32_e32 v5, v6
.LBB32_672:
	s_or_b64 exec, exec, s[2:3]
.LBB32_673:
	s_or_b64 exec, exec, s[0:1]
	s_branch .LBB32_770
.LBB32_674:
                                        ; implicit-def: $vgpr4
                                        ; implicit-def: $vgpr6
.LBB32_675:
	s_branch .LBB32_970
.LBB32_676:
                                        ; implicit-def: $vgpr2
                                        ; implicit-def: $vgpr5
	s_cbranch_execz .LBB32_770
; %bb.677:
	s_sub_i32 s10, s40, s8
	v_cmp_gt_u32_e32 vcc, s10, v0
	v_mov_b32_e32 v5, 0
	s_waitcnt lgkmcnt(0)
	v_mov_b32_e32 v6, 0
	v_mov_b32_e32 v1, 0
	s_and_saveexec_b64 s[0:1], vcc
	s_cbranch_execz .LBB32_679
; %bb.678:
	v_lshlrev_b32_e32 v1, 2, v0
	global_load_dword v1, v1, s[4:5]
	s_abs_i32 s2, s39
	v_cvt_f32_u32_e32 v2, s2
	s_sub_i32 s3, 0, s2
	v_add_u32_e32 v4, s14, v0
	v_sub_u32_e32 v5, 0, v4
	v_rcp_iflag_f32_e32 v2, v2
	v_max_i32_e32 v5, v4, v5
	v_mul_f32_e32 v2, 0x4f7ffffe, v2
	v_cvt_u32_f32_e32 v2, v2
	v_mul_lo_u32 v3, s3, v2
	v_mul_hi_u32 v3, v2, v3
	v_add_u32_e32 v2, v2, v3
	v_mul_hi_u32 v2, v5, v2
	v_ashrrev_i32_e32 v3, 31, v4
	v_mul_lo_u32 v2, v2, s2
	v_sub_u32_e32 v2, v5, v2
	v_subrev_u32_e32 v4, s2, v2
	v_cmp_le_u32_e32 vcc, s2, v2
	v_cndmask_b32_e32 v2, v2, v4, vcc
	v_subrev_u32_e32 v4, s2, v2
	v_cmp_le_u32_e32 vcc, s2, v2
	v_cndmask_b32_e32 v2, v2, v4, vcc
	v_xor_b32_e32 v2, v2, v3
	v_sub_u32_e32 v2, v2, v3
	v_cmp_gt_i32_e32 vcc, s38, v2
	v_cndmask_b32_e64 v5, 0, 1, vcc
.LBB32_679:
	s_or_b64 exec, exec, s[0:1]
	v_or_b32_e32 v2, 0x80, v0
	v_cmp_gt_u32_e64 s[2:3], s10, v2
	v_mov_b32_e32 v9, 0
	s_and_saveexec_b64 s[0:1], s[2:3]
	s_cbranch_execz .LBB32_681
; %bb.680:
	v_lshlrev_b32_e32 v3, 2, v0
	global_load_dword v6, v3, s[4:5] offset:512
	s_abs_i32 s8, s39
	v_cvt_f32_u32_e32 v3, s8
	s_sub_i32 s9, 0, s8
	v_add_u32_e32 v2, s14, v2
	v_sub_u32_e32 v7, 0, v2
	v_rcp_iflag_f32_e32 v3, v3
	v_max_i32_e32 v7, v2, v7
	v_ashrrev_i32_e32 v2, 31, v2
	v_mul_f32_e32 v3, 0x4f7ffffe, v3
	v_cvt_u32_f32_e32 v3, v3
	v_mul_lo_u32 v4, s9, v3
	v_mul_hi_u32 v4, v3, v4
	v_add_u32_e32 v3, v3, v4
	v_mul_hi_u32 v3, v7, v3
	v_mul_lo_u32 v3, v3, s8
	v_sub_u32_e32 v3, v7, v3
	v_subrev_u32_e32 v4, s8, v3
	v_cmp_le_u32_e32 vcc, s8, v3
	v_cndmask_b32_e32 v3, v3, v4, vcc
	v_subrev_u32_e32 v4, s8, v3
	v_cmp_le_u32_e32 vcc, s8, v3
	v_cndmask_b32_e32 v3, v3, v4, vcc
	v_xor_b32_e32 v3, v3, v2
	v_sub_u32_e32 v2, v3, v2
	v_cmp_gt_i32_e32 vcc, s38, v2
	v_cndmask_b32_e64 v9, 0, 1, vcc
.LBB32_681:
	s_or_b64 exec, exec, s[0:1]
	v_or_b32_e32 v2, 0x100, v0
	v_cmp_gt_u32_e64 s[0:1], s10, v2
	v_mov_b32_e32 v8, 0
	v_mov_b32_e32 v4, 0
	;; [unrolled: 1-line block ×3, first 2 shown]
	s_and_saveexec_b64 s[8:9], s[0:1]
	s_cbranch_execz .LBB32_683
; %bb.682:
	v_lshlrev_b32_e32 v3, 2, v0
	global_load_dword v7, v3, s[4:5] offset:1024
	s_abs_i32 s11, s39
	v_cvt_f32_u32_e32 v3, s11
	s_sub_i32 s12, 0, s11
	v_add_u32_e32 v2, s14, v2
	v_sub_u32_e32 v10, 0, v2
	v_rcp_iflag_f32_e32 v3, v3
	v_max_i32_e32 v10, v2, v10
	v_ashrrev_i32_e32 v2, 31, v2
	v_mul_f32_e32 v3, 0x4f7ffffe, v3
	v_cvt_u32_f32_e32 v3, v3
	v_mul_lo_u32 v8, s12, v3
	v_mul_hi_u32 v8, v3, v8
	v_add_u32_e32 v3, v3, v8
	v_mul_hi_u32 v3, v10, v3
	v_mul_lo_u32 v3, v3, s11
	v_sub_u32_e32 v3, v10, v3
	v_subrev_u32_e32 v8, s11, v3
	v_cmp_le_u32_e32 vcc, s11, v3
	v_cndmask_b32_e32 v3, v3, v8, vcc
	v_subrev_u32_e32 v8, s11, v3
	v_cmp_le_u32_e32 vcc, s11, v3
	v_cndmask_b32_e32 v3, v3, v8, vcc
	v_xor_b32_e32 v3, v3, v2
	v_sub_u32_e32 v2, v3, v2
	v_cmp_gt_i32_e32 vcc, s38, v2
	v_cndmask_b32_e64 v8, 0, 1, vcc
.LBB32_683:
	s_or_b64 exec, exec, s[8:9]
	v_or_b32_e32 v2, 0x180, v0
	v_cmp_gt_u32_e32 vcc, s10, v2
	v_mov_b32_e32 v3, 0
	s_and_saveexec_b64 s[8:9], vcc
	s_cbranch_execnz .LBB32_687
; %bb.684:
	s_or_b64 exec, exec, s[8:9]
	s_waitcnt vmcnt(0)
	v_mov_b32_e32 v2, v1
	s_and_saveexec_b64 s[8:9], s[2:3]
	s_cbranch_execnz .LBB32_688
.LBB32_685:
	s_or_b64 exec, exec, s[8:9]
	s_and_saveexec_b64 s[4:5], s[0:1]
	s_cbranch_execnz .LBB32_695
.LBB32_686:
	s_or_b64 exec, exec, s[4:5]
	s_and_saveexec_b64 s[2:3], vcc
	s_cbranch_execnz .LBB32_702
	s_branch .LBB32_709
.LBB32_687:
	v_lshlrev_b32_e32 v3, 2, v0
	global_load_dword v3, v3, s[4:5] offset:1536
	s_abs_i32 s11, s39
	v_cvt_f32_u32_e32 v4, s11
	s_sub_i32 s4, 0, s11
	v_add_u32_e32 v2, s14, v2
	v_sub_u32_e32 v11, 0, v2
	v_rcp_iflag_f32_e32 v4, v4
	v_max_i32_e32 v11, v2, v11
	v_ashrrev_i32_e32 v2, 31, v2
	v_mul_f32_e32 v4, 0x4f7ffffe, v4
	v_cvt_u32_f32_e32 v4, v4
	v_mul_lo_u32 v10, s4, v4
	v_mul_hi_u32 v10, v4, v10
	v_add_u32_e32 v4, v4, v10
	v_mul_hi_u32 v4, v11, v4
	v_mul_lo_u32 v4, v4, s11
	v_sub_u32_e32 v4, v11, v4
	v_subrev_u32_e32 v10, s11, v4
	v_cmp_le_u32_e64 s[4:5], s11, v4
	v_cndmask_b32_e64 v4, v4, v10, s[4:5]
	v_subrev_u32_e32 v10, s11, v4
	v_cmp_le_u32_e64 s[4:5], s11, v4
	v_cndmask_b32_e64 v4, v4, v10, s[4:5]
	v_xor_b32_e32 v4, v4, v2
	v_sub_u32_e32 v2, v4, v2
	v_cmp_gt_i32_e64 s[4:5], s38, v2
	v_cndmask_b32_e64 v4, 0, 1, s[4:5]
	s_or_b64 exec, exec, s[8:9]
	s_waitcnt vmcnt(1)
	v_mov_b32_e32 v2, v1
	s_and_saveexec_b64 s[8:9], s[2:3]
	s_cbranch_execz .LBB32_685
.LBB32_688:
	v_and_b32_e32 v2, 1, v5
	v_cmp_eq_u32_e64 s[2:3], 1, v2
	v_and_b32_e32 v2, 1, v9
	v_cmp_eq_u32_e64 s[4:5], 1, v2
	s_and_b64 s[4:5], s[2:3], s[4:5]
	s_xor_b64 s[4:5], s[4:5], -1
                                        ; implicit-def: $vgpr5
	s_and_saveexec_b64 s[12:13], s[4:5]
	s_xor_b64 s[4:5], exec, s[12:13]
	s_cbranch_execz .LBB32_692
; %bb.689:
	s_xor_b64 s[12:13], s[2:3], -1
	v_mov_b32_e32 v5, 1
	s_and_saveexec_b64 s[2:3], s[12:13]
; %bb.690:
	v_and_b32_e32 v5, 0xffff, v9
	v_mov_b32_e32 v1, v6
; %bb.691:
	s_or_b64 exec, exec, s[2:3]
                                        ; implicit-def: $vgpr6
.LBB32_692:
	s_or_saveexec_b64 s[4:5], s[4:5]
	v_mov_b32_e32 v9, v1
	s_xor_b64 exec, exec, s[4:5]
; %bb.693:
	v_cmp_lt_f32_e64 s[2:3], v6, v1
	v_cndmask_b32_e64 v9, v1, v6, s[2:3]
	v_cmp_lt_f32_e64 s[2:3], v1, v6
	v_cndmask_b32_e64 v1, v1, v6, s[2:3]
	v_mov_b32_e32 v5, 1
; %bb.694:
	s_or_b64 exec, exec, s[4:5]
	v_mov_b32_e32 v2, v1
	v_mov_b32_e32 v1, v9
	s_or_b64 exec, exec, s[8:9]
	s_and_saveexec_b64 s[4:5], s[0:1]
	s_cbranch_execz .LBB32_686
.LBB32_695:
	v_and_b32_e32 v5, 1, v5
	v_cmp_eq_u32_e64 s[0:1], 1, v5
	v_and_b32_e32 v5, 1, v8
	v_cmp_eq_u32_e64 s[2:3], 1, v5
	s_and_b64 s[2:3], s[0:1], s[2:3]
	s_xor_b64 s[2:3], s[2:3], -1
                                        ; implicit-def: $vgpr5
	s_and_saveexec_b64 s[8:9], s[2:3]
	s_xor_b64 s[2:3], exec, s[8:9]
	s_cbranch_execz .LBB32_699
; %bb.696:
	s_xor_b64 s[8:9], s[0:1], -1
	v_mov_b32_e32 v5, 1
	s_and_saveexec_b64 s[0:1], s[8:9]
; %bb.697:
	v_and_b32_e32 v5, 0xffff, v8
	v_mov_b32_e32 v2, v7
	v_mov_b32_e32 v1, v7
; %bb.698:
	s_or_b64 exec, exec, s[0:1]
                                        ; implicit-def: $vgpr7
.LBB32_699:
	s_andn2_saveexec_b64 s[2:3], s[2:3]
; %bb.700:
	v_cmp_lt_f32_e64 s[0:1], v7, v1
	v_cndmask_b32_e64 v1, v1, v7, s[0:1]
	v_cmp_lt_f32_e64 s[0:1], v2, v7
	v_cndmask_b32_e64 v2, v2, v7, s[0:1]
	v_mov_b32_e32 v5, 1
; %bb.701:
	s_or_b64 exec, exec, s[2:3]
	s_or_b64 exec, exec, s[4:5]
	s_and_saveexec_b64 s[2:3], vcc
	s_cbranch_execz .LBB32_709
.LBB32_702:
	v_and_b32_e32 v5, 1, v5
	v_cmp_eq_u32_e32 vcc, 1, v5
	v_and_b32_e32 v5, 1, v4
	v_cmp_eq_u32_e64 s[0:1], 1, v5
	s_and_b64 s[0:1], vcc, s[0:1]
	s_xor_b64 s[0:1], s[0:1], -1
                                        ; implicit-def: $vgpr5
	s_and_saveexec_b64 s[4:5], s[0:1]
	s_xor_b64 s[0:1], exec, s[4:5]
	s_cbranch_execz .LBB32_706
; %bb.703:
	s_xor_b64 s[8:9], vcc, -1
	v_mov_b32_e32 v5, 1
	s_and_saveexec_b64 s[4:5], s[8:9]
	s_cbranch_execz .LBB32_705
; %bb.704:
	v_and_b32_e32 v5, 0xffff, v4
	s_waitcnt vmcnt(0)
	v_mov_b32_e32 v2, v3
	v_mov_b32_e32 v1, v3
.LBB32_705:
	s_or_b64 exec, exec, s[4:5]
                                        ; implicit-def: $vgpr3
.LBB32_706:
	s_andn2_saveexec_b64 s[0:1], s[0:1]
	s_cbranch_execz .LBB32_708
; %bb.707:
	s_waitcnt vmcnt(0)
	v_cmp_lt_f32_e32 vcc, v3, v1
	v_cndmask_b32_e32 v1, v1, v3, vcc
	v_cmp_lt_f32_e32 vcc, v2, v3
	v_cndmask_b32_e32 v2, v2, v3, vcc
	v_mov_b32_e32 v5, 1
.LBB32_708:
	s_or_b64 exec, exec, s[0:1]
.LBB32_709:
	s_or_b64 exec, exec, s[2:3]
	s_waitcnt vmcnt(0)
	v_mbcnt_lo_u32_b32 v3, -1, 0
	v_mbcnt_hi_u32_b32 v3, -1, v3
	v_and_b32_e32 v4, 63, v3
	v_cmp_ne_u32_e32 vcc, 63, v4
	v_addc_co_u32_e32 v6, vcc, 0, v3, vcc
	v_lshlrev_b32_e32 v6, 2, v6
	ds_bpermute_b32 v9, v6, v5
	ds_bpermute_b32 v7, v6, v1
	;; [unrolled: 1-line block ×3, first 2 shown]
	s_min_u32 s8, s10, 0x80
	v_and_b32_e32 v6, 64, v0
	v_sub_u32_e64 v6, s8, v6 clamp
	v_add_u32_e32 v10, 1, v4
	v_cmp_lt_u32_e32 vcc, v10, v6
	s_and_saveexec_b64 s[0:1], vcc
	s_xor_b64 s[0:1], exec, s[0:1]
	s_cbranch_execz .LBB32_717
; %bb.710:
	s_waitcnt lgkmcnt(2)
	v_and_b32_e32 v10, v9, v5
	v_cmp_ne_u32_e32 vcc, 0, v10
	s_and_saveexec_b64 s[2:3], vcc
	s_xor_b64 s[2:3], exec, s[2:3]
	s_cbranch_execz .LBB32_712
; %bb.711:
	s_waitcnt lgkmcnt(1)
	v_cmp_gt_f32_e32 vcc, v1, v7
	v_cndmask_b32_e32 v7, v1, v7, vcc
	s_waitcnt lgkmcnt(0)
	v_cmp_lt_f32_e32 vcc, v2, v8
	v_cndmask_b32_e32 v8, v2, v8, vcc
                                        ; implicit-def: $vgpr2
                                        ; implicit-def: $vgpr9
                                        ; implicit-def: $vgpr5
.LBB32_712:
	s_or_saveexec_b64 s[2:3], s[2:3]
	v_mov_b32_e32 v10, 1
	s_xor_b64 exec, exec, s[2:3]
	s_cbranch_execz .LBB32_716
; %bb.713:
	v_and_b32_e32 v5, 1, v5
	v_cmp_eq_u32_e32 vcc, 1, v5
	s_and_saveexec_b64 s[4:5], vcc
	s_cbranch_execz .LBB32_715
; %bb.714:
	v_mov_b32_e32 v9, 1
	s_waitcnt lgkmcnt(0)
	v_mov_b32_e32 v8, v2
	v_mov_b32_e32 v7, v1
.LBB32_715:
	s_or_b64 exec, exec, s[4:5]
	v_mov_b32_e32 v10, v9
.LBB32_716:
	s_or_b64 exec, exec, s[2:3]
	v_and_b32_e32 v5, 0xff, v10
	s_waitcnt lgkmcnt(1)
	v_mov_b32_e32 v1, v7
	s_waitcnt lgkmcnt(0)
	v_mov_b32_e32 v2, v8
.LBB32_717:
	s_or_b64 exec, exec, s[0:1]
	v_cmp_gt_u32_e32 vcc, 62, v4
	s_waitcnt lgkmcnt(1)
	v_cndmask_b32_e64 v7, 0, 2, vcc
	v_add_lshl_u32 v7, v7, v3, 2
	ds_bpermute_b32 v9, v7, v5
	s_waitcnt lgkmcnt(1)
	ds_bpermute_b32 v8, v7, v1
	ds_bpermute_b32 v7, v7, v2
	v_add_u32_e32 v10, 2, v4
	v_cmp_lt_u32_e32 vcc, v10, v6
	s_and_saveexec_b64 s[0:1], vcc
	s_cbranch_execz .LBB32_725
; %bb.718:
	s_waitcnt lgkmcnt(2)
	v_and_b32_e32 v10, v5, v9
	v_and_b32_e32 v10, 1, v10
	v_cmp_eq_u32_e32 vcc, 1, v10
	s_and_saveexec_b64 s[2:3], vcc
	s_xor_b64 s[2:3], exec, s[2:3]
	s_cbranch_execz .LBB32_720
; %bb.719:
	s_waitcnt lgkmcnt(1)
	v_cmp_gt_f32_e32 vcc, v1, v8
	v_cndmask_b32_e32 v8, v1, v8, vcc
	s_waitcnt lgkmcnt(0)
	v_cmp_lt_f32_e32 vcc, v2, v7
	v_cndmask_b32_e32 v7, v2, v7, vcc
                                        ; implicit-def: $vgpr2
                                        ; implicit-def: $vgpr9
                                        ; implicit-def: $vgpr5
.LBB32_720:
	s_or_saveexec_b64 s[2:3], s[2:3]
	v_mov_b32_e32 v10, 1
	s_xor_b64 exec, exec, s[2:3]
	s_cbranch_execz .LBB32_724
; %bb.721:
	v_and_b32_e32 v5, 1, v5
	v_cmp_eq_u32_e32 vcc, 1, v5
	s_and_saveexec_b64 s[4:5], vcc
	s_cbranch_execz .LBB32_723
; %bb.722:
	v_mov_b32_e32 v9, 1
	s_waitcnt lgkmcnt(0)
	v_mov_b32_e32 v7, v2
	v_mov_b32_e32 v8, v1
.LBB32_723:
	s_or_b64 exec, exec, s[4:5]
	v_mov_b32_e32 v10, v9
.LBB32_724:
	s_or_b64 exec, exec, s[2:3]
	v_and_b32_e32 v5, 0xff, v10
	s_waitcnt lgkmcnt(1)
	v_mov_b32_e32 v1, v8
	s_waitcnt lgkmcnt(0)
	v_mov_b32_e32 v2, v7
.LBB32_725:
	s_or_b64 exec, exec, s[0:1]
	v_cmp_gt_u32_e32 vcc, 60, v4
	s_waitcnt lgkmcnt(0)
	v_cndmask_b32_e64 v7, 0, 4, vcc
	v_add_lshl_u32 v7, v7, v3, 2
	ds_bpermute_b32 v9, v7, v5
	ds_bpermute_b32 v8, v7, v1
	ds_bpermute_b32 v7, v7, v2
	v_add_u32_e32 v10, 4, v4
	v_cmp_lt_u32_e32 vcc, v10, v6
	s_and_saveexec_b64 s[0:1], vcc
	s_cbranch_execz .LBB32_733
; %bb.726:
	s_waitcnt lgkmcnt(2)
	v_and_b32_e32 v10, v5, v9
	v_and_b32_e32 v10, 1, v10
	v_cmp_eq_u32_e32 vcc, 1, v10
	s_and_saveexec_b64 s[2:3], vcc
	s_xor_b64 s[2:3], exec, s[2:3]
	s_cbranch_execz .LBB32_728
; %bb.727:
	s_waitcnt lgkmcnt(1)
	v_cmp_gt_f32_e32 vcc, v1, v8
	v_cndmask_b32_e32 v8, v1, v8, vcc
	s_waitcnt lgkmcnt(0)
	v_cmp_lt_f32_e32 vcc, v2, v7
	v_cndmask_b32_e32 v7, v2, v7, vcc
                                        ; implicit-def: $vgpr2
                                        ; implicit-def: $vgpr9
                                        ; implicit-def: $vgpr5
.LBB32_728:
	s_or_saveexec_b64 s[2:3], s[2:3]
	v_mov_b32_e32 v10, 1
	s_xor_b64 exec, exec, s[2:3]
	s_cbranch_execz .LBB32_732
; %bb.729:
	v_and_b32_e32 v5, 1, v5
	v_cmp_eq_u32_e32 vcc, 1, v5
	s_and_saveexec_b64 s[4:5], vcc
	s_cbranch_execz .LBB32_731
; %bb.730:
	v_mov_b32_e32 v9, 1
	s_waitcnt lgkmcnt(0)
	v_mov_b32_e32 v7, v2
	v_mov_b32_e32 v8, v1
.LBB32_731:
	s_or_b64 exec, exec, s[4:5]
	v_mov_b32_e32 v10, v9
.LBB32_732:
	s_or_b64 exec, exec, s[2:3]
	v_and_b32_e32 v5, 0xff, v10
	s_waitcnt lgkmcnt(1)
	v_mov_b32_e32 v1, v8
	s_waitcnt lgkmcnt(0)
	v_mov_b32_e32 v2, v7
.LBB32_733:
	s_or_b64 exec, exec, s[0:1]
	v_cmp_gt_u32_e32 vcc, 56, v4
	s_waitcnt lgkmcnt(0)
	v_cndmask_b32_e64 v7, 0, 8, vcc
	v_add_lshl_u32 v7, v7, v3, 2
	ds_bpermute_b32 v9, v7, v5
	ds_bpermute_b32 v8, v7, v1
	ds_bpermute_b32 v7, v7, v2
	v_add_u32_e32 v10, 8, v4
	v_cmp_lt_u32_e32 vcc, v10, v6
	s_and_saveexec_b64 s[0:1], vcc
	s_cbranch_execz .LBB32_741
; %bb.734:
	s_waitcnt lgkmcnt(2)
	v_and_b32_e32 v10, v5, v9
	v_and_b32_e32 v10, 1, v10
	v_cmp_eq_u32_e32 vcc, 1, v10
	s_and_saveexec_b64 s[2:3], vcc
	s_xor_b64 s[2:3], exec, s[2:3]
	s_cbranch_execz .LBB32_736
; %bb.735:
	s_waitcnt lgkmcnt(1)
	v_cmp_gt_f32_e32 vcc, v1, v8
	v_cndmask_b32_e32 v8, v1, v8, vcc
	s_waitcnt lgkmcnt(0)
	v_cmp_lt_f32_e32 vcc, v2, v7
	v_cndmask_b32_e32 v7, v2, v7, vcc
                                        ; implicit-def: $vgpr2
                                        ; implicit-def: $vgpr9
                                        ; implicit-def: $vgpr5
.LBB32_736:
	s_or_saveexec_b64 s[2:3], s[2:3]
	v_mov_b32_e32 v10, 1
	s_xor_b64 exec, exec, s[2:3]
	s_cbranch_execz .LBB32_740
; %bb.737:
	v_and_b32_e32 v5, 1, v5
	v_cmp_eq_u32_e32 vcc, 1, v5
	s_and_saveexec_b64 s[4:5], vcc
	s_cbranch_execz .LBB32_739
; %bb.738:
	v_mov_b32_e32 v9, 1
	s_waitcnt lgkmcnt(0)
	v_mov_b32_e32 v7, v2
	v_mov_b32_e32 v8, v1
.LBB32_739:
	s_or_b64 exec, exec, s[4:5]
	v_mov_b32_e32 v10, v9
.LBB32_740:
	s_or_b64 exec, exec, s[2:3]
	v_and_b32_e32 v5, 0xff, v10
	s_waitcnt lgkmcnt(1)
	v_mov_b32_e32 v1, v8
	s_waitcnt lgkmcnt(0)
	v_mov_b32_e32 v2, v7
.LBB32_741:
	s_or_b64 exec, exec, s[0:1]
	v_cmp_gt_u32_e32 vcc, 48, v4
	s_waitcnt lgkmcnt(0)
	v_cndmask_b32_e64 v7, 0, 16, vcc
	v_add_lshl_u32 v7, v7, v3, 2
	ds_bpermute_b32 v9, v7, v5
	ds_bpermute_b32 v8, v7, v1
	ds_bpermute_b32 v7, v7, v2
	v_add_u32_e32 v10, 16, v4
	v_cmp_lt_u32_e32 vcc, v10, v6
	s_and_saveexec_b64 s[0:1], vcc
	s_cbranch_execz .LBB32_749
; %bb.742:
	s_waitcnt lgkmcnt(2)
	v_and_b32_e32 v10, v5, v9
	v_and_b32_e32 v10, 1, v10
	v_cmp_eq_u32_e32 vcc, 1, v10
	s_and_saveexec_b64 s[2:3], vcc
	s_xor_b64 s[2:3], exec, s[2:3]
	s_cbranch_execz .LBB32_744
; %bb.743:
	s_waitcnt lgkmcnt(1)
	v_cmp_gt_f32_e32 vcc, v1, v8
	v_cndmask_b32_e32 v8, v1, v8, vcc
	s_waitcnt lgkmcnt(0)
	v_cmp_lt_f32_e32 vcc, v2, v7
	v_cndmask_b32_e32 v7, v2, v7, vcc
                                        ; implicit-def: $vgpr2
                                        ; implicit-def: $vgpr9
                                        ; implicit-def: $vgpr5
.LBB32_744:
	s_or_saveexec_b64 s[2:3], s[2:3]
	v_mov_b32_e32 v10, 1
	s_xor_b64 exec, exec, s[2:3]
	s_cbranch_execz .LBB32_748
; %bb.745:
	v_and_b32_e32 v5, 1, v5
	v_cmp_eq_u32_e32 vcc, 1, v5
	s_and_saveexec_b64 s[4:5], vcc
	s_cbranch_execz .LBB32_747
; %bb.746:
	v_mov_b32_e32 v9, 1
	s_waitcnt lgkmcnt(0)
	v_mov_b32_e32 v7, v2
	v_mov_b32_e32 v8, v1
.LBB32_747:
	s_or_b64 exec, exec, s[4:5]
	v_mov_b32_e32 v10, v9
.LBB32_748:
	s_or_b64 exec, exec, s[2:3]
	v_and_b32_e32 v5, 0xff, v10
	s_waitcnt lgkmcnt(1)
	v_mov_b32_e32 v1, v8
	s_waitcnt lgkmcnt(0)
	v_mov_b32_e32 v2, v7
.LBB32_749:
	s_or_b64 exec, exec, s[0:1]
	s_waitcnt lgkmcnt(0)
	v_lshlrev_b32_e32 v7, 2, v3
	v_or_b32_e32 v9, 0x80, v7
	ds_bpermute_b32 v10, v9, v5
	ds_bpermute_b32 v8, v9, v1
	;; [unrolled: 1-line block ×3, first 2 shown]
	v_add_u32_e32 v4, 32, v4
	v_cmp_lt_u32_e32 vcc, v4, v6
	v_mov_b32_e32 v4, v5
	s_and_saveexec_b64 s[0:1], vcc
	s_cbranch_execz .LBB32_757
; %bb.750:
	s_waitcnt lgkmcnt(2)
	v_and_b32_e32 v4, v5, v10
	v_and_b32_e32 v4, 1, v4
	v_cmp_eq_u32_e32 vcc, 1, v4
	s_and_saveexec_b64 s[2:3], vcc
	s_xor_b64 s[2:3], exec, s[2:3]
	s_cbranch_execz .LBB32_752
; %bb.751:
	s_waitcnt lgkmcnt(1)
	v_cmp_gt_f32_e32 vcc, v1, v8
	v_cndmask_b32_e32 v8, v1, v8, vcc
	s_waitcnt lgkmcnt(0)
	v_cmp_lt_f32_e32 vcc, v2, v9
	v_cndmask_b32_e32 v9, v2, v9, vcc
                                        ; implicit-def: $vgpr2
                                        ; implicit-def: $vgpr10
                                        ; implicit-def: $vgpr5
.LBB32_752:
	s_or_saveexec_b64 s[2:3], s[2:3]
	v_mov_b32_e32 v4, 1
	s_xor_b64 exec, exec, s[2:3]
	s_cbranch_execz .LBB32_756
; %bb.753:
	v_and_b32_e32 v4, 1, v5
	v_cmp_eq_u32_e32 vcc, 1, v4
	s_and_saveexec_b64 s[4:5], vcc
	s_cbranch_execz .LBB32_755
; %bb.754:
	v_mov_b32_e32 v10, 1
	s_waitcnt lgkmcnt(0)
	v_mov_b32_e32 v9, v2
	v_mov_b32_e32 v8, v1
.LBB32_755:
	s_or_b64 exec, exec, s[4:5]
	v_mov_b32_e32 v4, v10
.LBB32_756:
	s_or_b64 exec, exec, s[2:3]
	v_and_b32_e32 v5, 0xff, v4
	s_waitcnt lgkmcnt(0)
	v_mov_b32_e32 v2, v9
	v_mov_b32_e32 v1, v8
.LBB32_757:
	s_or_b64 exec, exec, s[0:1]
	v_cmp_eq_u32_e32 vcc, 0, v3
	s_and_saveexec_b64 s[0:1], vcc
	s_cbranch_execz .LBB32_759
; %bb.758:
	v_lshrrev_b32_e32 v6, 6, v0
	v_mul_u32_u24_e32 v6, 12, v6
	ds_write_b8 v6, v4
	ds_write2_b32 v6, v1, v2 offset0:1 offset1:2
.LBB32_759:
	s_or_b64 exec, exec, s[0:1]
	v_cmp_gt_u32_e32 vcc, 2, v0
	s_waitcnt lgkmcnt(0)
	s_barrier
	s_and_saveexec_b64 s[0:1], vcc
	s_cbranch_execz .LBB32_769
; %bb.760:
	v_mul_u32_u24_e32 v1, 12, v3
	ds_read_u8 v8, v1
	ds_read2_b32 v[1:2], v1 offset0:1 offset1:2
	v_or_b32_e32 v6, 4, v7
	s_add_i32 s8, s8, 63
	v_and_b32_e32 v3, 1, v3
	s_waitcnt lgkmcnt(1)
	v_and_b32_e32 v5, 0xff, v8
	s_waitcnt lgkmcnt(0)
	ds_bpermute_b32 v4, v6, v1
	ds_bpermute_b32 v7, v6, v5
	;; [unrolled: 1-line block ×3, first 2 shown]
	s_lshr_b32 s2, s8, 6
	v_add_u32_e32 v3, 1, v3
	v_cmp_gt_u32_e32 vcc, s2, v3
	s_and_saveexec_b64 s[2:3], vcc
	s_cbranch_execz .LBB32_768
; %bb.761:
	s_waitcnt lgkmcnt(1)
	v_and_b32_e32 v3, v5, v7
	v_and_b32_e32 v3, 1, v3
	v_cmp_eq_u32_e32 vcc, 1, v3
	s_and_saveexec_b64 s[4:5], vcc
	s_xor_b64 s[4:5], exec, s[4:5]
	s_cbranch_execz .LBB32_763
; %bb.762:
	v_cmp_gt_f32_e32 vcc, v1, v4
	v_cndmask_b32_e32 v4, v1, v4, vcc
	s_waitcnt lgkmcnt(0)
	v_cmp_lt_f32_e32 vcc, v2, v6
	v_cndmask_b32_e32 v6, v2, v6, vcc
                                        ; implicit-def: $vgpr2
                                        ; implicit-def: $vgpr7
                                        ; implicit-def: $vgpr8
.LBB32_763:
	s_or_saveexec_b64 s[4:5], s[4:5]
	v_mov_b32_e32 v5, 1
	s_xor_b64 exec, exec, s[4:5]
	s_cbranch_execz .LBB32_767
; %bb.764:
	v_and_b32_e32 v3, 1, v8
	v_cmp_eq_u32_e32 vcc, 1, v3
	s_and_saveexec_b64 s[8:9], vcc
	s_cbranch_execz .LBB32_766
; %bb.765:
	v_mov_b32_e32 v7, 1
	s_waitcnt lgkmcnt(0)
	v_mov_b32_e32 v6, v2
	v_mov_b32_e32 v4, v1
.LBB32_766:
	s_or_b64 exec, exec, s[8:9]
	v_mov_b32_e32 v5, v7
.LBB32_767:
	s_or_b64 exec, exec, s[4:5]
	s_waitcnt lgkmcnt(0)
	v_mov_b32_e32 v2, v6
	v_mov_b32_e32 v1, v4
.LBB32_768:
	s_or_b64 exec, exec, s[2:3]
.LBB32_769:
	s_or_b64 exec, exec, s[0:1]
.LBB32_770:
	v_cmp_eq_u32_e32 vcc, 0, v0
                                        ; implicit-def: $vgpr4
                                        ; implicit-def: $vgpr6
	s_and_saveexec_b64 s[0:1], vcc
	s_xor_b64 s[2:3], exec, s[0:1]
	s_cbranch_execz .LBB32_778
; %bb.771:
	s_cmp_eq_u64 s[40:41], 0
	s_waitcnt lgkmcnt(2)
	v_mov_b32_e32 v4, s35
	v_mov_b32_e32 v3, s34
	s_waitcnt lgkmcnt(0)
	v_mov_b32_e32 v6, s33
	s_cbranch_scc1 .LBB32_777
; %bb.772:
	s_bitcmp1_b32 s33, 0
	v_and_b32_e32 v3, 1, v5
	s_cselect_b64 vcc, -1, 0
	v_cmp_eq_u32_e64 s[0:1], 1, v3
	s_and_b64 s[0:1], vcc, s[0:1]
	s_xor_b64 s[0:1], s[0:1], -1
                                        ; implicit-def: $vgpr4
                                        ; implicit-def: $vgpr6
	s_and_saveexec_b64 s[4:5], s[0:1]
	s_xor_b64 s[0:1], exec, s[4:5]
; %bb.773:
	v_mov_b32_e32 v3, s34
	v_cndmask_b32_e32 v3, v1, v3, vcc
	v_mov_b32_e32 v1, s35
	v_cndmask_b32_e64 v6, v5, 1, vcc
	v_cndmask_b32_e32 v4, v2, v1, vcc
                                        ; implicit-def: $vgpr1
; %bb.774:
	s_andn2_saveexec_b64 s[0:1], s[0:1]
; %bb.775:
	v_mov_b32_e32 v3, s34
	v_cmp_gt_f32_e32 vcc, s34, v1
	v_cndmask_b32_e32 v3, v3, v1, vcc
	v_mov_b32_e32 v1, s35
	v_cmp_lt_f32_e32 vcc, s35, v2
	v_cndmask_b32_e32 v4, v1, v2, vcc
	v_mov_b32_e32 v6, 1
; %bb.776:
	s_or_b64 exec, exec, s[0:1]
.LBB32_777:
	s_or_b64 s[16:17], s[16:17], exec
.LBB32_778:
	s_or_b64 exec, exec, s[2:3]
	s_branch .LBB32_970
.LBB32_779:
	s_cmp_gt_i32 s44, 1
	s_cbranch_scc0 .LBB32_835
; %bb.780:
	s_cmp_eq_u32 s44, 2
	s_cbranch_scc0 .LBB32_836
; %bb.781:
	s_mov_b32 s7, 0
	s_lshl_b32 s8, s6, 8
	s_mov_b32 s9, s7
	s_lshr_b64 s[0:1], s[40:41], 8
	s_add_i32 s12, s45, s8
	s_lshl_b64 s[2:3], s[8:9], 2
	s_add_u32 s4, s36, s2
	s_addc_u32 s5, s37, s3
	s_cmp_lg_u64 s[0:1], s[6:7]
	s_cbranch_scc0 .LBB32_837
; %bb.782:
	v_lshlrev_b32_e32 v3, 2, v0
	s_waitcnt lgkmcnt(1)
	global_load_dword v1, v3, s[4:5]
	s_waitcnt lgkmcnt(0)
	global_load_dword v2, v3, s[4:5] offset:512
	s_abs_i32 s2, s39
	v_cvt_f32_u32_e32 v3, s2
	s_sub_i32 s0, 0, s2
	v_add_u32_e32 v5, s12, v0
	v_sub_u32_e32 v6, 0, v5
	v_rcp_iflag_f32_e32 v3, v3
	v_max_i32_e32 v6, v5, v6
	v_ashrrev_i32_e32 v7, 31, v5
	v_add_u32_e32 v8, 0x80, v5
	v_mul_f32_e32 v3, 0x4f7ffffe, v3
	v_cvt_u32_f32_e32 v3, v3
	v_sub_u32_e32 v5, 0xffffff80, v5
	v_max_i32_e32 v5, v8, v5
	v_mul_lo_u32 v4, s0, v3
	v_mul_hi_u32 v4, v3, v4
	v_add_u32_e32 v3, v3, v4
	v_mul_hi_u32 v4, v6, v3
	v_mul_hi_u32 v3, v5, v3
	v_mul_lo_u32 v4, v4, s2
	v_mul_lo_u32 v3, v3, s2
	v_sub_u32_e32 v4, v6, v4
	v_subrev_u32_e32 v6, s2, v4
	v_cmp_le_u32_e32 vcc, s2, v4
	v_cndmask_b32_e32 v4, v4, v6, vcc
	v_subrev_u32_e32 v6, s2, v4
	v_cmp_le_u32_e32 vcc, s2, v4
	v_sub_u32_e32 v3, v5, v3
	v_cndmask_b32_e32 v4, v4, v6, vcc
	v_subrev_u32_e32 v5, s2, v3
	v_cmp_le_u32_e64 s[0:1], s2, v3
	v_xor_b32_e32 v4, v4, v7
	v_cndmask_b32_e64 v3, v3, v5, s[0:1]
	v_sub_u32_e32 v4, v4, v7
	v_subrev_u32_e32 v5, s2, v3
	v_cmp_le_u32_e64 s[0:1], s2, v3
	v_cmp_le_i32_e32 vcc, s38, v4
	v_ashrrev_i32_e32 v4, 31, v8
	v_cndmask_b32_e64 v3, v3, v5, s[0:1]
	v_xor_b32_e32 v3, v3, v4
	v_sub_u32_e32 v3, v3, v4
	v_cmp_le_i32_e64 s[2:3], s38, v3
	v_cmp_gt_i32_e64 s[0:1], s38, v3
	s_or_b64 s[2:3], vcc, s[2:3]
                                        ; implicit-def: $vgpr5
	s_and_saveexec_b64 s[10:11], s[2:3]
	s_xor_b64 s[2:3], exec, s[10:11]
	s_cbranch_execz .LBB32_786
; %bb.783:
	v_mov_b32_e32 v5, 1
	s_and_saveexec_b64 s[10:11], vcc
	s_cbranch_execz .LBB32_785
; %bb.784:
	v_cndmask_b32_e64 v5, 0, 1, s[0:1]
	s_waitcnt vmcnt(0)
	v_mov_b32_e32 v1, v2
.LBB32_785:
	s_or_b64 exec, exec, s[10:11]
                                        ; implicit-def: $vgpr2
.LBB32_786:
	s_or_saveexec_b64 s[0:1], s[2:3]
	s_waitcnt vmcnt(1)
	v_mov_b32_e32 v4, v1
	s_xor_b64 exec, exec, s[0:1]
	s_cbranch_execz .LBB32_788
; %bb.787:
	s_waitcnt vmcnt(0)
	v_cmp_lt_f32_e32 vcc, v2, v1
	v_cndmask_b32_e32 v3, v1, v2, vcc
	v_cmp_lt_f32_e32 vcc, v1, v2
	v_cndmask_b32_e32 v4, v1, v2, vcc
	v_mov_b32_e32 v5, 1
	v_mov_b32_e32 v1, v3
.LBB32_788:
	s_or_b64 exec, exec, s[0:1]
	v_and_b32_e32 v6, 0xff, v5
	v_and_b32_e32 v5, 1, v5
	v_cmp_eq_u32_e64 s[0:1], 1, v5
	v_mov_b32_dpp v7, v6 quad_perm:[1,0,3,2] row_mask:0xf bank_mask:0xf bound_ctrl:1
	v_and_b32_e32 v7, 1, v7
	v_cmp_eq_u32_e32 vcc, 1, v7
	s_and_b64 s[0:1], vcc, s[0:1]
	s_waitcnt vmcnt(0)
	v_mov_b32_dpp v2, v1 quad_perm:[1,0,3,2] row_mask:0xf bank_mask:0xf bound_ctrl:1
	v_mov_b32_dpp v3, v4 quad_perm:[1,0,3,2] row_mask:0xf bank_mask:0xf bound_ctrl:1
	s_xor_b64 s[0:1], s[0:1], -1
                                        ; implicit-def: $vgpr5
	s_and_saveexec_b64 s[2:3], s[0:1]
	s_xor_b64 s[0:1], exec, s[2:3]
	s_cbranch_execz .LBB32_792
; %bb.789:
	s_xor_b64 s[10:11], vcc, -1
	v_mov_b32_e32 v5, 1
	s_and_saveexec_b64 s[2:3], s[10:11]
; %bb.790:
	v_mov_b32_e32 v3, v4
	v_mov_b32_e32 v2, v1
	;; [unrolled: 1-line block ×3, first 2 shown]
; %bb.791:
	s_or_b64 exec, exec, s[2:3]
                                        ; implicit-def: $vgpr1
                                        ; implicit-def: $vgpr4
.LBB32_792:
	s_andn2_saveexec_b64 s[0:1], s[0:1]
; %bb.793:
	v_cmp_lt_f32_e32 vcc, v1, v2
	v_cndmask_b32_e32 v2, v2, v1, vcc
	v_cmp_gt_f32_e32 vcc, v4, v3
	v_cndmask_b32_e32 v3, v3, v4, vcc
	v_mov_b32_e32 v5, 1
; %bb.794:
	s_or_b64 exec, exec, s[0:1]
	s_nop 0
	v_mov_b32_dpp v6, v5 quad_perm:[2,3,0,1] row_mask:0xf bank_mask:0xf bound_ctrl:1
	v_and_b32_e32 v7, 1, v6
	v_and_b32_e32 v6, v6, v5
	;; [unrolled: 1-line block ×3, first 2 shown]
	v_mov_b32_dpp v1, v2 quad_perm:[2,3,0,1] row_mask:0xf bank_mask:0xf bound_ctrl:1
	v_mov_b32_dpp v4, v3 quad_perm:[2,3,0,1] row_mask:0xf bank_mask:0xf bound_ctrl:1
	v_cmp_ne_u32_e32 vcc, 1, v7
	v_cmp_ne_u32_e64 s[0:1], 1, v6
                                        ; implicit-def: $vgpr6
	s_and_saveexec_b64 s[2:3], s[0:1]
	s_xor_b64 s[0:1], exec, s[2:3]
	s_cbranch_execz .LBB32_798
; %bb.795:
	v_mov_b32_e32 v6, 1
	s_and_saveexec_b64 s[2:3], vcc
; %bb.796:
	v_mov_b32_e32 v4, v3
	v_mov_b32_e32 v1, v2
	;; [unrolled: 1-line block ×3, first 2 shown]
; %bb.797:
	s_or_b64 exec, exec, s[2:3]
                                        ; implicit-def: $vgpr2
                                        ; implicit-def: $vgpr3
.LBB32_798:
	s_andn2_saveexec_b64 s[0:1], s[0:1]
; %bb.799:
	v_cmp_lt_f32_e32 vcc, v2, v1
	v_cndmask_b32_e32 v1, v1, v2, vcc
	v_cmp_gt_f32_e32 vcc, v3, v4
	v_cndmask_b32_e32 v4, v4, v3, vcc
	v_mov_b32_e32 v6, 1
; %bb.800:
	s_or_b64 exec, exec, s[0:1]
	s_nop 0
	v_mov_b32_dpp v5, v6 row_ror:4 row_mask:0xf bank_mask:0xf bound_ctrl:1
	v_and_b32_e32 v7, 1, v5
	v_and_b32_e32 v5, v5, v6
	;; [unrolled: 1-line block ×3, first 2 shown]
	v_mov_b32_dpp v2, v1 row_ror:4 row_mask:0xf bank_mask:0xf bound_ctrl:1
	v_mov_b32_dpp v3, v4 row_ror:4 row_mask:0xf bank_mask:0xf bound_ctrl:1
	v_cmp_ne_u32_e32 vcc, 1, v7
	v_cmp_ne_u32_e64 s[0:1], 1, v5
                                        ; implicit-def: $vgpr5
	s_and_saveexec_b64 s[2:3], s[0:1]
	s_xor_b64 s[0:1], exec, s[2:3]
	s_cbranch_execz .LBB32_804
; %bb.801:
	v_mov_b32_e32 v5, 1
	s_and_saveexec_b64 s[2:3], vcc
; %bb.802:
	v_mov_b32_e32 v3, v4
	v_mov_b32_e32 v2, v1
	;; [unrolled: 1-line block ×3, first 2 shown]
; %bb.803:
	s_or_b64 exec, exec, s[2:3]
                                        ; implicit-def: $vgpr1
                                        ; implicit-def: $vgpr4
.LBB32_804:
	s_andn2_saveexec_b64 s[0:1], s[0:1]
; %bb.805:
	v_cmp_lt_f32_e32 vcc, v1, v2
	v_cndmask_b32_e32 v2, v2, v1, vcc
	v_cmp_gt_f32_e32 vcc, v4, v3
	v_cndmask_b32_e32 v3, v3, v4, vcc
	v_mov_b32_e32 v5, 1
; %bb.806:
	s_or_b64 exec, exec, s[0:1]
	s_nop 0
	v_mov_b32_dpp v6, v5 row_ror:8 row_mask:0xf bank_mask:0xf bound_ctrl:1
	v_and_b32_e32 v7, 1, v6
	v_and_b32_e32 v6, v6, v5
	;; [unrolled: 1-line block ×3, first 2 shown]
	v_mov_b32_dpp v1, v2 row_ror:8 row_mask:0xf bank_mask:0xf bound_ctrl:1
	v_mov_b32_dpp v4, v3 row_ror:8 row_mask:0xf bank_mask:0xf bound_ctrl:1
	v_cmp_ne_u32_e32 vcc, 1, v7
	v_cmp_ne_u32_e64 s[0:1], 1, v6
                                        ; implicit-def: $vgpr6
	s_and_saveexec_b64 s[2:3], s[0:1]
	s_xor_b64 s[0:1], exec, s[2:3]
	s_cbranch_execz .LBB32_810
; %bb.807:
	v_mov_b32_e32 v6, 1
	s_and_saveexec_b64 s[2:3], vcc
; %bb.808:
	v_mov_b32_e32 v4, v3
	v_mov_b32_e32 v1, v2
	;; [unrolled: 1-line block ×3, first 2 shown]
; %bb.809:
	s_or_b64 exec, exec, s[2:3]
                                        ; implicit-def: $vgpr2
                                        ; implicit-def: $vgpr3
.LBB32_810:
	s_andn2_saveexec_b64 s[0:1], s[0:1]
; %bb.811:
	v_cmp_lt_f32_e32 vcc, v2, v1
	v_cndmask_b32_e32 v1, v1, v2, vcc
	v_cmp_gt_f32_e32 vcc, v3, v4
	v_cndmask_b32_e32 v4, v4, v3, vcc
	v_mov_b32_e32 v6, 1
; %bb.812:
	s_or_b64 exec, exec, s[0:1]
	s_nop 0
	v_mov_b32_dpp v5, v6 row_bcast:15 row_mask:0xf bank_mask:0xf bound_ctrl:1
	v_and_b32_e32 v7, 1, v5
	v_and_b32_e32 v5, v5, v6
	;; [unrolled: 1-line block ×3, first 2 shown]
	v_mov_b32_dpp v2, v1 row_bcast:15 row_mask:0xf bank_mask:0xf bound_ctrl:1
	v_mov_b32_dpp v3, v4 row_bcast:15 row_mask:0xf bank_mask:0xf bound_ctrl:1
	v_cmp_ne_u32_e32 vcc, 1, v7
	v_cmp_ne_u32_e64 s[0:1], 1, v5
                                        ; implicit-def: $vgpr5
	s_and_saveexec_b64 s[2:3], s[0:1]
	s_xor_b64 s[0:1], exec, s[2:3]
	s_cbranch_execz .LBB32_816
; %bb.813:
	v_mov_b32_e32 v5, 1
	s_and_saveexec_b64 s[2:3], vcc
; %bb.814:
	v_mov_b32_e32 v3, v4
	v_mov_b32_e32 v2, v1
	;; [unrolled: 1-line block ×3, first 2 shown]
; %bb.815:
	s_or_b64 exec, exec, s[2:3]
                                        ; implicit-def: $vgpr1
                                        ; implicit-def: $vgpr4
.LBB32_816:
	s_andn2_saveexec_b64 s[0:1], s[0:1]
; %bb.817:
	v_cmp_lt_f32_e32 vcc, v1, v2
	v_cndmask_b32_e32 v2, v2, v1, vcc
	v_cmp_gt_f32_e32 vcc, v4, v3
	v_cndmask_b32_e32 v3, v3, v4, vcc
	v_mov_b32_e32 v5, 1
; %bb.818:
	s_or_b64 exec, exec, s[0:1]
	s_nop 0
	v_mov_b32_dpp v6, v5 row_bcast:31 row_mask:0xf bank_mask:0xf bound_ctrl:1
	v_and_b32_e32 v7, 1, v6
	v_and_b32_e32 v6, v6, v5
	v_and_b32_e32 v6, 1, v6
	v_mov_b32_dpp v1, v2 row_bcast:31 row_mask:0xf bank_mask:0xf bound_ctrl:1
	v_mov_b32_dpp v4, v3 row_bcast:31 row_mask:0xf bank_mask:0xf bound_ctrl:1
	v_cmp_ne_u32_e32 vcc, 1, v7
	v_cmp_ne_u32_e64 s[0:1], 1, v6
                                        ; implicit-def: $vgpr6
	s_and_saveexec_b64 s[2:3], s[0:1]
	s_xor_b64 s[0:1], exec, s[2:3]
	s_cbranch_execz .LBB32_822
; %bb.819:
	v_mov_b32_e32 v6, 1
	s_and_saveexec_b64 s[2:3], vcc
; %bb.820:
	v_mov_b32_e32 v4, v3
	v_mov_b32_e32 v1, v2
	;; [unrolled: 1-line block ×3, first 2 shown]
; %bb.821:
	s_or_b64 exec, exec, s[2:3]
                                        ; implicit-def: $vgpr2
                                        ; implicit-def: $vgpr3
.LBB32_822:
	s_andn2_saveexec_b64 s[0:1], s[0:1]
; %bb.823:
	v_cmp_lt_f32_e32 vcc, v2, v1
	v_cndmask_b32_e32 v1, v1, v2, vcc
	v_cmp_gt_f32_e32 vcc, v3, v4
	v_cndmask_b32_e32 v4, v4, v3, vcc
	v_mov_b32_e32 v6, 1
; %bb.824:
	s_or_b64 exec, exec, s[0:1]
	v_mbcnt_lo_u32_b32 v2, -1, 0
	v_mbcnt_hi_u32_b32 v3, -1, v2
	v_lshlrev_b32_e32 v8, 2, v3
	v_or_b32_e32 v2, 0xfc, v8
	ds_bpermute_b32 v5, v2, v6
	ds_bpermute_b32 v1, v2, v1
	;; [unrolled: 1-line block ×3, first 2 shown]
	v_cmp_eq_u32_e32 vcc, 0, v3
	s_and_saveexec_b64 s[0:1], vcc
	s_cbranch_execz .LBB32_826
; %bb.825:
	v_lshrrev_b32_e32 v4, 6, v0
	v_mul_u32_u24_e32 v4, 12, v4
	s_waitcnt lgkmcnt(2)
	ds_write_b8 v4, v5 offset:96
	s_waitcnt lgkmcnt(1)
	ds_write2_b32 v4, v1, v2 offset0:25 offset1:26
.LBB32_826:
	s_or_b64 exec, exec, s[0:1]
	v_cmp_gt_u32_e32 vcc, 64, v0
	s_waitcnt lgkmcnt(0)
	s_barrier
	s_and_saveexec_b64 s[0:1], vcc
	s_cbranch_execz .LBB32_834
; %bb.827:
	v_and_b32_e32 v1, 1, v3
	v_mul_u32_u24_e32 v1, 12, v1
	ds_read_u8 v7, v1 offset:96
	ds_read2_b32 v[3:4], v1 offset0:25 offset1:26
	v_or_b32_e32 v2, 4, v8
	s_waitcnt lgkmcnt(1)
	v_and_b32_e32 v1, 0xff, v7
	ds_bpermute_b32 v6, v2, v1
	s_waitcnt lgkmcnt(1)
	ds_bpermute_b32 v1, v2, v3
	ds_bpermute_b32 v2, v2, v4
	s_waitcnt lgkmcnt(2)
	v_and_b32_e32 v5, v7, v6
	v_and_b32_e32 v5, 1, v5
	v_cmp_eq_u32_e32 vcc, 1, v5
	s_and_saveexec_b64 s[2:3], vcc
	s_xor_b64 s[2:3], exec, s[2:3]
	s_cbranch_execz .LBB32_829
; %bb.828:
	s_waitcnt lgkmcnt(1)
	v_cmp_gt_f32_e32 vcc, v3, v1
	v_cndmask_b32_e32 v1, v3, v1, vcc
	s_waitcnt lgkmcnt(0)
	v_cmp_lt_f32_e32 vcc, v4, v2
	v_cndmask_b32_e32 v2, v4, v2, vcc
                                        ; implicit-def: $vgpr4
                                        ; implicit-def: $vgpr6
                                        ; implicit-def: $vgpr7
.LBB32_829:
	s_or_saveexec_b64 s[2:3], s[2:3]
	v_mov_b32_e32 v5, 1
	s_xor_b64 exec, exec, s[2:3]
	s_cbranch_execz .LBB32_833
; %bb.830:
	v_and_b32_e32 v5, 1, v7
	v_cmp_eq_u32_e32 vcc, 1, v5
	s_and_saveexec_b64 s[10:11], vcc
	s_cbranch_execz .LBB32_832
; %bb.831:
	v_mov_b32_e32 v6, 1
	s_waitcnt lgkmcnt(0)
	v_mov_b32_e32 v2, v4
	v_mov_b32_e32 v1, v3
.LBB32_832:
	s_or_b64 exec, exec, s[10:11]
	v_mov_b32_e32 v5, v6
.LBB32_833:
	s_or_b64 exec, exec, s[2:3]
.LBB32_834:
	s_or_b64 exec, exec, s[0:1]
	s_branch .LBB32_911
.LBB32_835:
                                        ; implicit-def: $vgpr4
                                        ; implicit-def: $vgpr6
	s_cbranch_execnz .LBB32_920
	s_branch .LBB32_970
.LBB32_836:
                                        ; implicit-def: $vgpr4
                                        ; implicit-def: $vgpr6
	s_branch .LBB32_970
.LBB32_837:
                                        ; implicit-def: $vgpr2
                                        ; implicit-def: $vgpr5
	s_cbranch_execz .LBB32_911
; %bb.838:
	s_sub_i32 s8, s40, s8
	v_cmp_gt_u32_e32 vcc, s8, v0
	s_waitcnt lgkmcnt(1)
	v_mov_b32_e32 v7, 0
	v_mov_b32_e32 v3, 0
	;; [unrolled: 1-line block ×3, first 2 shown]
	s_and_saveexec_b64 s[0:1], vcc
	s_cbranch_execz .LBB32_840
; %bb.839:
	v_lshlrev_b32_e32 v1, 2, v0
	global_load_dword v1, v1, s[4:5]
	s_abs_i32 s2, s39
	s_waitcnt lgkmcnt(0)
	v_cvt_f32_u32_e32 v2, s2
	s_sub_i32 s3, 0, s2
	v_add_u32_e32 v5, s12, v0
	v_sub_u32_e32 v6, 0, v5
	v_rcp_iflag_f32_e32 v2, v2
	v_max_i32_e32 v6, v5, v6
	v_mul_f32_e32 v2, 0x4f7ffffe, v2
	v_cvt_u32_f32_e32 v2, v2
	v_mul_lo_u32 v4, s3, v2
	v_mul_hi_u32 v4, v2, v4
	v_add_u32_e32 v2, v2, v4
	v_mul_hi_u32 v2, v6, v2
	v_ashrrev_i32_e32 v4, 31, v5
	v_mul_lo_u32 v2, v2, s2
	v_sub_u32_e32 v2, v6, v2
	v_subrev_u32_e32 v5, s2, v2
	v_cmp_le_u32_e32 vcc, s2, v2
	v_cndmask_b32_e32 v2, v2, v5, vcc
	v_subrev_u32_e32 v5, s2, v2
	v_cmp_le_u32_e32 vcc, s2, v2
	v_cndmask_b32_e32 v2, v2, v5, vcc
	v_xor_b32_e32 v2, v2, v4
	v_sub_u32_e32 v2, v2, v4
	v_cmp_gt_i32_e32 vcc, s38, v2
	v_cndmask_b32_e64 v7, 0, 1, vcc
.LBB32_840:
	s_or_b64 exec, exec, s[0:1]
	s_waitcnt lgkmcnt(0)
	v_or_b32_e32 v2, 0x80, v0
	v_cmp_gt_u32_e32 vcc, s8, v2
	v_mov_b32_e32 v4, 0
	s_and_saveexec_b64 s[2:3], vcc
	s_cbranch_execz .LBB32_842
; %bb.841:
	v_lshlrev_b32_e32 v3, 2, v0
	global_load_dword v3, v3, s[4:5] offset:512
	s_abs_i32 s4, s39
	v_cvt_f32_u32_e32 v4, s4
	s_sub_i32 s0, 0, s4
	v_add_u32_e32 v2, s12, v2
	v_sub_u32_e32 v6, 0, v2
	v_rcp_iflag_f32_e32 v4, v4
	v_max_i32_e32 v6, v2, v6
	v_ashrrev_i32_e32 v2, 31, v2
	v_mul_f32_e32 v4, 0x4f7ffffe, v4
	v_cvt_u32_f32_e32 v4, v4
	v_mul_lo_u32 v5, s0, v4
	v_mul_hi_u32 v5, v4, v5
	v_add_u32_e32 v4, v4, v5
	v_mul_hi_u32 v4, v6, v4
	v_mul_lo_u32 v4, v4, s4
	v_sub_u32_e32 v4, v6, v4
	v_subrev_u32_e32 v5, s4, v4
	v_cmp_le_u32_e64 s[0:1], s4, v4
	v_cndmask_b32_e64 v4, v4, v5, s[0:1]
	v_subrev_u32_e32 v5, s4, v4
	v_cmp_le_u32_e64 s[0:1], s4, v4
	v_cndmask_b32_e64 v4, v4, v5, s[0:1]
	v_xor_b32_e32 v4, v4, v2
	v_sub_u32_e32 v2, v4, v2
	v_cmp_gt_i32_e64 s[0:1], s38, v2
	v_cndmask_b32_e64 v4, 0, 1, s[0:1]
.LBB32_842:
	s_or_b64 exec, exec, s[2:3]
	s_waitcnt vmcnt(0)
	v_mov_b32_e32 v2, v1
	s_and_saveexec_b64 s[2:3], vcc
	s_cbranch_execz .LBB32_850
; %bb.843:
	v_and_b32_e32 v2, 1, v7
	v_cmp_eq_u32_e32 vcc, 1, v2
	v_and_b32_e32 v2, v7, v4
	v_and_b32_e32 v2, 1, v2
	v_cmp_eq_u32_e64 s[0:1], 1, v2
	s_xor_b64 s[0:1], s[0:1], -1
                                        ; implicit-def: $vgpr7
	s_and_saveexec_b64 s[4:5], s[0:1]
	s_xor_b64 s[0:1], exec, s[4:5]
	s_cbranch_execz .LBB32_847
; %bb.844:
	s_xor_b64 s[10:11], vcc, -1
	v_mov_b32_e32 v7, 1
	s_and_saveexec_b64 s[4:5], s[10:11]
; %bb.845:
	v_mov_b32_e32 v1, v3
	v_mov_b32_e32 v7, v4
; %bb.846:
	s_or_b64 exec, exec, s[4:5]
                                        ; implicit-def: $vgpr3
.LBB32_847:
	s_or_saveexec_b64 s[0:1], s[0:1]
	v_mov_b32_e32 v4, v1
	s_xor_b64 exec, exec, s[0:1]
; %bb.848:
	v_cmp_lt_f32_e32 vcc, v3, v1
	v_cndmask_b32_e32 v4, v1, v3, vcc
	v_cmp_lt_f32_e32 vcc, v1, v3
	v_cndmask_b32_e32 v1, v1, v3, vcc
	v_mov_b32_e32 v7, 1
; %bb.849:
	s_or_b64 exec, exec, s[0:1]
	v_mov_b32_e32 v2, v1
	v_mov_b32_e32 v1, v4
.LBB32_850:
	s_or_b64 exec, exec, s[2:3]
	v_mbcnt_lo_u32_b32 v3, -1, 0
	v_mbcnt_hi_u32_b32 v3, -1, v3
	v_and_b32_e32 v4, 63, v3
	v_cmp_ne_u32_e32 vcc, 63, v4
	v_addc_co_u32_e32 v6, vcc, 0, v3, vcc
	v_and_b32_e32 v5, 0xff, v7
	v_lshlrev_b32_e32 v6, 2, v6
	ds_bpermute_b32 v10, v6, v5
	ds_bpermute_b32 v8, v6, v1
	;; [unrolled: 1-line block ×3, first 2 shown]
	s_min_u32 s8, s8, 0x80
	v_and_b32_e32 v6, 64, v0
	v_sub_u32_e64 v6, s8, v6 clamp
	v_add_u32_e32 v11, 1, v4
	v_cmp_lt_u32_e32 vcc, v11, v6
	s_and_saveexec_b64 s[0:1], vcc
	s_xor_b64 s[0:1], exec, s[0:1]
	s_cbranch_execz .LBB32_858
; %bb.851:
	s_waitcnt lgkmcnt(2)
	v_and_b32_e32 v5, v10, v5
	v_cmp_ne_u32_e32 vcc, 0, v5
	s_and_saveexec_b64 s[2:3], vcc
	s_xor_b64 s[2:3], exec, s[2:3]
	s_cbranch_execz .LBB32_853
; %bb.852:
	s_waitcnt lgkmcnt(1)
	v_cmp_gt_f32_e32 vcc, v1, v8
	v_cndmask_b32_e32 v8, v1, v8, vcc
	s_waitcnt lgkmcnt(0)
	v_cmp_lt_f32_e32 vcc, v2, v9
	v_cndmask_b32_e32 v9, v2, v9, vcc
                                        ; implicit-def: $vgpr2
                                        ; implicit-def: $vgpr10
                                        ; implicit-def: $vgpr7
.LBB32_853:
	s_or_saveexec_b64 s[2:3], s[2:3]
	v_mov_b32_e32 v5, 1
	s_xor_b64 exec, exec, s[2:3]
	s_cbranch_execz .LBB32_857
; %bb.854:
	v_and_b32_e32 v5, 1, v7
	v_cmp_eq_u32_e32 vcc, 1, v5
	s_and_saveexec_b64 s[4:5], vcc
	s_cbranch_execz .LBB32_856
; %bb.855:
	v_mov_b32_e32 v10, 1
	s_waitcnt lgkmcnt(0)
	v_mov_b32_e32 v9, v2
	v_mov_b32_e32 v8, v1
.LBB32_856:
	s_or_b64 exec, exec, s[4:5]
	v_mov_b32_e32 v5, v10
.LBB32_857:
	s_or_b64 exec, exec, s[2:3]
	v_and_b32_e32 v5, 0xff, v5
	s_waitcnt lgkmcnt(1)
	v_mov_b32_e32 v1, v8
	s_waitcnt lgkmcnt(0)
	v_mov_b32_e32 v2, v9
.LBB32_858:
	s_or_b64 exec, exec, s[0:1]
	v_cmp_gt_u32_e32 vcc, 62, v4
	v_cndmask_b32_e64 v7, 0, 2, vcc
	v_add_lshl_u32 v7, v7, v3, 2
	s_waitcnt lgkmcnt(0)
	ds_bpermute_b32 v9, v7, v5
	ds_bpermute_b32 v8, v7, v1
	ds_bpermute_b32 v7, v7, v2
	v_add_u32_e32 v10, 2, v4
	v_cmp_lt_u32_e32 vcc, v10, v6
	s_and_saveexec_b64 s[0:1], vcc
	s_cbranch_execz .LBB32_866
; %bb.859:
	s_waitcnt lgkmcnt(2)
	v_and_b32_e32 v10, v5, v9
	v_and_b32_e32 v10, 1, v10
	v_cmp_eq_u32_e32 vcc, 1, v10
	s_and_saveexec_b64 s[2:3], vcc
	s_xor_b64 s[2:3], exec, s[2:3]
	s_cbranch_execz .LBB32_861
; %bb.860:
	s_waitcnt lgkmcnt(1)
	v_cmp_gt_f32_e32 vcc, v1, v8
	v_cndmask_b32_e32 v8, v1, v8, vcc
	s_waitcnt lgkmcnt(0)
	v_cmp_lt_f32_e32 vcc, v2, v7
	v_cndmask_b32_e32 v7, v2, v7, vcc
                                        ; implicit-def: $vgpr2
                                        ; implicit-def: $vgpr9
                                        ; implicit-def: $vgpr5
.LBB32_861:
	s_or_saveexec_b64 s[2:3], s[2:3]
	v_mov_b32_e32 v10, 1
	s_xor_b64 exec, exec, s[2:3]
	s_cbranch_execz .LBB32_865
; %bb.862:
	v_and_b32_e32 v5, 1, v5
	v_cmp_eq_u32_e32 vcc, 1, v5
	s_and_saveexec_b64 s[4:5], vcc
	s_cbranch_execz .LBB32_864
; %bb.863:
	v_mov_b32_e32 v9, 1
	s_waitcnt lgkmcnt(0)
	v_mov_b32_e32 v7, v2
	v_mov_b32_e32 v8, v1
.LBB32_864:
	s_or_b64 exec, exec, s[4:5]
	v_mov_b32_e32 v10, v9
.LBB32_865:
	s_or_b64 exec, exec, s[2:3]
	v_and_b32_e32 v5, 0xff, v10
	s_waitcnt lgkmcnt(1)
	v_mov_b32_e32 v1, v8
	s_waitcnt lgkmcnt(0)
	v_mov_b32_e32 v2, v7
.LBB32_866:
	s_or_b64 exec, exec, s[0:1]
	v_cmp_gt_u32_e32 vcc, 60, v4
	s_waitcnt lgkmcnt(0)
	v_cndmask_b32_e64 v7, 0, 4, vcc
	v_add_lshl_u32 v7, v7, v3, 2
	ds_bpermute_b32 v9, v7, v5
	ds_bpermute_b32 v8, v7, v1
	ds_bpermute_b32 v7, v7, v2
	v_add_u32_e32 v10, 4, v4
	v_cmp_lt_u32_e32 vcc, v10, v6
	s_and_saveexec_b64 s[0:1], vcc
	s_cbranch_execz .LBB32_874
; %bb.867:
	s_waitcnt lgkmcnt(2)
	v_and_b32_e32 v10, v5, v9
	v_and_b32_e32 v10, 1, v10
	v_cmp_eq_u32_e32 vcc, 1, v10
	s_and_saveexec_b64 s[2:3], vcc
	s_xor_b64 s[2:3], exec, s[2:3]
	s_cbranch_execz .LBB32_869
; %bb.868:
	s_waitcnt lgkmcnt(1)
	v_cmp_gt_f32_e32 vcc, v1, v8
	v_cndmask_b32_e32 v8, v1, v8, vcc
	s_waitcnt lgkmcnt(0)
	v_cmp_lt_f32_e32 vcc, v2, v7
	v_cndmask_b32_e32 v7, v2, v7, vcc
                                        ; implicit-def: $vgpr2
                                        ; implicit-def: $vgpr9
                                        ; implicit-def: $vgpr5
.LBB32_869:
	s_or_saveexec_b64 s[2:3], s[2:3]
	v_mov_b32_e32 v10, 1
	s_xor_b64 exec, exec, s[2:3]
	s_cbranch_execz .LBB32_873
; %bb.870:
	v_and_b32_e32 v5, 1, v5
	v_cmp_eq_u32_e32 vcc, 1, v5
	s_and_saveexec_b64 s[4:5], vcc
	s_cbranch_execz .LBB32_872
; %bb.871:
	v_mov_b32_e32 v9, 1
	s_waitcnt lgkmcnt(0)
	v_mov_b32_e32 v7, v2
	v_mov_b32_e32 v8, v1
.LBB32_872:
	s_or_b64 exec, exec, s[4:5]
	v_mov_b32_e32 v10, v9
.LBB32_873:
	s_or_b64 exec, exec, s[2:3]
	v_and_b32_e32 v5, 0xff, v10
	s_waitcnt lgkmcnt(1)
	v_mov_b32_e32 v1, v8
	s_waitcnt lgkmcnt(0)
	v_mov_b32_e32 v2, v7
.LBB32_874:
	s_or_b64 exec, exec, s[0:1]
	v_cmp_gt_u32_e32 vcc, 56, v4
	s_waitcnt lgkmcnt(0)
	v_cndmask_b32_e64 v7, 0, 8, vcc
	v_add_lshl_u32 v7, v7, v3, 2
	;; [unrolled: 56-line block ×3, first 2 shown]
	ds_bpermute_b32 v9, v7, v5
	ds_bpermute_b32 v8, v7, v1
	;; [unrolled: 1-line block ×3, first 2 shown]
	v_add_u32_e32 v10, 16, v4
	v_cmp_lt_u32_e32 vcc, v10, v6
	s_and_saveexec_b64 s[0:1], vcc
	s_cbranch_execz .LBB32_890
; %bb.883:
	s_waitcnt lgkmcnt(2)
	v_and_b32_e32 v10, v5, v9
	v_and_b32_e32 v10, 1, v10
	v_cmp_eq_u32_e32 vcc, 1, v10
	s_and_saveexec_b64 s[2:3], vcc
	s_xor_b64 s[2:3], exec, s[2:3]
	s_cbranch_execz .LBB32_885
; %bb.884:
	s_waitcnt lgkmcnt(1)
	v_cmp_gt_f32_e32 vcc, v1, v8
	v_cndmask_b32_e32 v8, v1, v8, vcc
	s_waitcnt lgkmcnt(0)
	v_cmp_lt_f32_e32 vcc, v2, v7
	v_cndmask_b32_e32 v7, v2, v7, vcc
                                        ; implicit-def: $vgpr2
                                        ; implicit-def: $vgpr9
                                        ; implicit-def: $vgpr5
.LBB32_885:
	s_or_saveexec_b64 s[2:3], s[2:3]
	v_mov_b32_e32 v10, 1
	s_xor_b64 exec, exec, s[2:3]
	s_cbranch_execz .LBB32_889
; %bb.886:
	v_and_b32_e32 v5, 1, v5
	v_cmp_eq_u32_e32 vcc, 1, v5
	s_and_saveexec_b64 s[4:5], vcc
	s_cbranch_execz .LBB32_888
; %bb.887:
	v_mov_b32_e32 v9, 1
	s_waitcnt lgkmcnt(0)
	v_mov_b32_e32 v7, v2
	v_mov_b32_e32 v8, v1
.LBB32_888:
	s_or_b64 exec, exec, s[4:5]
	v_mov_b32_e32 v10, v9
.LBB32_889:
	s_or_b64 exec, exec, s[2:3]
	v_and_b32_e32 v5, 0xff, v10
	s_waitcnt lgkmcnt(1)
	v_mov_b32_e32 v1, v8
	s_waitcnt lgkmcnt(0)
	v_mov_b32_e32 v2, v7
.LBB32_890:
	s_or_b64 exec, exec, s[0:1]
	s_waitcnt lgkmcnt(0)
	v_lshlrev_b32_e32 v7, 2, v3
	v_or_b32_e32 v9, 0x80, v7
	ds_bpermute_b32 v10, v9, v5
	ds_bpermute_b32 v8, v9, v1
	;; [unrolled: 1-line block ×3, first 2 shown]
	v_add_u32_e32 v4, 32, v4
	v_cmp_lt_u32_e32 vcc, v4, v6
	v_mov_b32_e32 v4, v5
	s_and_saveexec_b64 s[0:1], vcc
	s_cbranch_execz .LBB32_898
; %bb.891:
	s_waitcnt lgkmcnt(2)
	v_and_b32_e32 v4, v5, v10
	v_and_b32_e32 v4, 1, v4
	v_cmp_eq_u32_e32 vcc, 1, v4
	s_and_saveexec_b64 s[2:3], vcc
	s_xor_b64 s[2:3], exec, s[2:3]
	s_cbranch_execz .LBB32_893
; %bb.892:
	s_waitcnt lgkmcnt(1)
	v_cmp_gt_f32_e32 vcc, v1, v8
	v_cndmask_b32_e32 v8, v1, v8, vcc
	s_waitcnt lgkmcnt(0)
	v_cmp_lt_f32_e32 vcc, v2, v9
	v_cndmask_b32_e32 v9, v2, v9, vcc
                                        ; implicit-def: $vgpr2
                                        ; implicit-def: $vgpr10
                                        ; implicit-def: $vgpr5
.LBB32_893:
	s_or_saveexec_b64 s[2:3], s[2:3]
	v_mov_b32_e32 v4, 1
	s_xor_b64 exec, exec, s[2:3]
	s_cbranch_execz .LBB32_897
; %bb.894:
	v_and_b32_e32 v4, 1, v5
	v_cmp_eq_u32_e32 vcc, 1, v4
	s_and_saveexec_b64 s[4:5], vcc
	s_cbranch_execz .LBB32_896
; %bb.895:
	v_mov_b32_e32 v10, 1
	s_waitcnt lgkmcnt(0)
	v_mov_b32_e32 v9, v2
	v_mov_b32_e32 v8, v1
.LBB32_896:
	s_or_b64 exec, exec, s[4:5]
	v_mov_b32_e32 v4, v10
.LBB32_897:
	s_or_b64 exec, exec, s[2:3]
	v_and_b32_e32 v5, 0xff, v4
	s_waitcnt lgkmcnt(0)
	v_mov_b32_e32 v2, v9
	v_mov_b32_e32 v1, v8
.LBB32_898:
	s_or_b64 exec, exec, s[0:1]
	v_cmp_eq_u32_e32 vcc, 0, v3
	s_and_saveexec_b64 s[0:1], vcc
	s_cbranch_execz .LBB32_900
; %bb.899:
	v_lshrrev_b32_e32 v6, 6, v0
	v_mul_u32_u24_e32 v6, 12, v6
	ds_write_b8 v6, v4
	ds_write2_b32 v6, v1, v2 offset0:1 offset1:2
.LBB32_900:
	s_or_b64 exec, exec, s[0:1]
	v_cmp_gt_u32_e32 vcc, 2, v0
	s_waitcnt lgkmcnt(0)
	s_barrier
	s_and_saveexec_b64 s[0:1], vcc
	s_cbranch_execz .LBB32_910
; %bb.901:
	v_mul_u32_u24_e32 v1, 12, v3
	ds_read_u8 v8, v1
	ds_read2_b32 v[1:2], v1 offset0:1 offset1:2
	v_or_b32_e32 v6, 4, v7
	s_add_i32 s8, s8, 63
	v_and_b32_e32 v3, 1, v3
	s_waitcnt lgkmcnt(1)
	v_and_b32_e32 v5, 0xff, v8
	s_waitcnt lgkmcnt(0)
	ds_bpermute_b32 v4, v6, v1
	ds_bpermute_b32 v7, v6, v5
	ds_bpermute_b32 v6, v6, v2
	s_lshr_b32 s2, s8, 6
	v_add_u32_e32 v3, 1, v3
	v_cmp_gt_u32_e32 vcc, s2, v3
	s_and_saveexec_b64 s[2:3], vcc
	s_cbranch_execz .LBB32_909
; %bb.902:
	s_waitcnt lgkmcnt(1)
	v_and_b32_e32 v3, v5, v7
	v_and_b32_e32 v3, 1, v3
	v_cmp_eq_u32_e32 vcc, 1, v3
	s_and_saveexec_b64 s[4:5], vcc
	s_xor_b64 s[4:5], exec, s[4:5]
	s_cbranch_execz .LBB32_904
; %bb.903:
	v_cmp_gt_f32_e32 vcc, v1, v4
	v_cndmask_b32_e32 v4, v1, v4, vcc
	s_waitcnt lgkmcnt(0)
	v_cmp_lt_f32_e32 vcc, v2, v6
	v_cndmask_b32_e32 v6, v2, v6, vcc
                                        ; implicit-def: $vgpr2
                                        ; implicit-def: $vgpr7
                                        ; implicit-def: $vgpr8
.LBB32_904:
	s_or_saveexec_b64 s[4:5], s[4:5]
	v_mov_b32_e32 v5, 1
	s_xor_b64 exec, exec, s[4:5]
	s_cbranch_execz .LBB32_908
; %bb.905:
	v_and_b32_e32 v3, 1, v8
	v_cmp_eq_u32_e32 vcc, 1, v3
	s_and_saveexec_b64 s[8:9], vcc
	s_cbranch_execz .LBB32_907
; %bb.906:
	v_mov_b32_e32 v7, 1
	s_waitcnt lgkmcnt(0)
	v_mov_b32_e32 v6, v2
	v_mov_b32_e32 v4, v1
.LBB32_907:
	s_or_b64 exec, exec, s[8:9]
	v_mov_b32_e32 v5, v7
.LBB32_908:
	s_or_b64 exec, exec, s[4:5]
	s_waitcnt lgkmcnt(0)
	v_mov_b32_e32 v2, v6
	v_mov_b32_e32 v1, v4
.LBB32_909:
	s_or_b64 exec, exec, s[2:3]
.LBB32_910:
	s_or_b64 exec, exec, s[0:1]
.LBB32_911:
	v_cmp_eq_u32_e32 vcc, 0, v0
                                        ; implicit-def: $vgpr4
                                        ; implicit-def: $vgpr6
	s_and_saveexec_b64 s[0:1], vcc
	s_xor_b64 s[2:3], exec, s[0:1]
	s_cbranch_execz .LBB32_919
; %bb.912:
	s_cmp_eq_u64 s[40:41], 0
	s_waitcnt lgkmcnt(2)
	v_mov_b32_e32 v4, s35
	v_mov_b32_e32 v3, s34
	s_waitcnt lgkmcnt(0)
	v_mov_b32_e32 v6, s33
	s_cbranch_scc1 .LBB32_918
; %bb.913:
	s_bitcmp1_b32 s33, 0
	v_and_b32_e32 v3, 1, v5
	s_cselect_b64 vcc, -1, 0
	v_cmp_eq_u32_e64 s[0:1], 1, v3
	s_and_b64 s[0:1], vcc, s[0:1]
	s_xor_b64 s[0:1], s[0:1], -1
                                        ; implicit-def: $vgpr4
                                        ; implicit-def: $vgpr6
	s_and_saveexec_b64 s[4:5], s[0:1]
	s_xor_b64 s[0:1], exec, s[4:5]
; %bb.914:
	v_mov_b32_e32 v3, s34
	v_cndmask_b32_e32 v3, v1, v3, vcc
	v_mov_b32_e32 v1, s35
	v_cndmask_b32_e64 v6, v5, 1, vcc
	v_cndmask_b32_e32 v4, v2, v1, vcc
                                        ; implicit-def: $vgpr1
; %bb.915:
	s_andn2_saveexec_b64 s[0:1], s[0:1]
; %bb.916:
	v_mov_b32_e32 v3, s34
	v_cmp_gt_f32_e32 vcc, s34, v1
	v_cndmask_b32_e32 v3, v3, v1, vcc
	v_mov_b32_e32 v1, s35
	v_cmp_lt_f32_e32 vcc, s35, v2
	v_cndmask_b32_e32 v4, v1, v2, vcc
	v_mov_b32_e32 v6, 1
; %bb.917:
	s_or_b64 exec, exec, s[0:1]
.LBB32_918:
	s_or_b64 s[16:17], s[16:17], exec
.LBB32_919:
	s_or_b64 exec, exec, s[2:3]
	s_branch .LBB32_970
.LBB32_920:
	s_cmp_eq_u32 s44, 1
	s_cbranch_scc0 .LBB32_969
; %bb.921:
	s_mov_b32 s3, 0
	s_lshl_b32 s2, s6, 7
	s_mov_b32 s7, s3
	s_lshr_b64 s[0:1], s[40:41], 7
	s_cmp_lg_u64 s[0:1], s[6:7]
	s_cbranch_scc0 .LBB32_973
; %bb.922:
	s_lshl_b64 s[0:1], s[2:3], 2
	s_add_u32 s0, s36, s0
	s_addc_u32 s1, s37, s1
	s_waitcnt lgkmcnt(1)
	v_lshlrev_b32_e32 v1, 2, v0
	global_load_dword v1, v1, s[0:1]
	s_abs_i32 s0, s39
	s_waitcnt lgkmcnt(0)
	v_cvt_f32_u32_e32 v2, s0
	s_sub_i32 s1, 0, s0
	v_rcp_iflag_f32_e32 v2, v2
	v_mul_f32_e32 v2, 0x4f7ffffe, v2
	v_cvt_u32_f32_e32 v2, v2
	v_mul_lo_u32 v3, s1, v2
	s_add_i32 s1, s45, s2
	v_add_u32_e32 v4, s1, v0
	v_sub_u32_e32 v5, 0, v4
	v_mul_hi_u32 v3, v2, v3
	v_max_i32_e32 v5, v4, v5
	v_add_u32_e32 v2, v2, v3
	v_mul_hi_u32 v2, v5, v2
	v_ashrrev_i32_e32 v3, 31, v4
	v_mul_lo_u32 v2, v2, s0
	v_sub_u32_e32 v2, v5, v2
	v_subrev_u32_e32 v4, s0, v2
	v_cmp_le_u32_e32 vcc, s0, v2
	v_cndmask_b32_e32 v2, v2, v4, vcc
	v_subrev_u32_e32 v4, s0, v2
	v_cmp_le_u32_e32 vcc, s0, v2
	v_cndmask_b32_e32 v2, v2, v4, vcc
	v_xor_b32_e32 v2, v2, v3
	v_sub_u32_e32 v2, v2, v3
	v_cmp_gt_i32_e64 s[0:1], s38, v2
	v_cndmask_b32_e64 v3, 0, 1, s[0:1]
                                        ; implicit-def: $vgpr4
	s_nop 1
	v_mov_b32_dpp v2, v3 quad_perm:[1,0,3,2] row_mask:0xf bank_mask:0xf bound_ctrl:1
	v_and_b32_e32 v2, 1, v2
	v_cmp_eq_u32_e32 vcc, 1, v2
	s_and_b64 s[0:1], vcc, s[0:1]
	s_xor_b64 s[0:1], s[0:1], -1
	s_waitcnt vmcnt(0)
	v_mov_b32_dpp v2, v1 quad_perm:[1,0,3,2] row_mask:0xf bank_mask:0xf bound_ctrl:1
	s_and_saveexec_b64 s[4:5], s[0:1]
	s_xor_b64 s[0:1], exec, s[4:5]
	s_cbranch_execz .LBB32_926
; %bb.923:
	s_xor_b64 s[8:9], vcc, -1
	v_mov_b32_e32 v4, 1
	s_and_saveexec_b64 s[4:5], s[8:9]
; %bb.924:
	v_mov_b32_e32 v2, v1
	v_mov_b32_e32 v4, v3
; %bb.925:
	s_or_b64 exec, exec, s[4:5]
                                        ; implicit-def: $vgpr1
.LBB32_926:
	s_or_saveexec_b64 s[0:1], s[0:1]
	v_mov_b32_e32 v6, v2
	s_xor_b64 exec, exec, s[0:1]
; %bb.927:
	v_cmp_lt_f32_e32 vcc, v1, v2
	v_cndmask_b32_e32 v3, v2, v1, vcc
	v_cmp_gt_f32_e32 vcc, v1, v2
	v_cndmask_b32_e32 v6, v2, v1, vcc
	v_mov_b32_e32 v4, 1
	v_mov_b32_e32 v2, v3
; %bb.928:
	s_or_b64 exec, exec, s[0:1]
	v_mov_b32_dpp v5, v4 quad_perm:[2,3,0,1] row_mask:0xf bank_mask:0xf bound_ctrl:1
	v_and_b32_e32 v7, 1, v5
	v_and_b32_e32 v5, v5, v4
	;; [unrolled: 1-line block ×3, first 2 shown]
	v_mov_b32_dpp v1, v2 quad_perm:[2,3,0,1] row_mask:0xf bank_mask:0xf bound_ctrl:1
	v_mov_b32_dpp v3, v6 quad_perm:[2,3,0,1] row_mask:0xf bank_mask:0xf bound_ctrl:1
	v_cmp_ne_u32_e32 vcc, 1, v7
	v_cmp_ne_u32_e64 s[0:1], 1, v5
                                        ; implicit-def: $vgpr5
	s_and_saveexec_b64 s[4:5], s[0:1]
	s_xor_b64 s[0:1], exec, s[4:5]
	s_cbranch_execz .LBB32_932
; %bb.929:
	v_mov_b32_e32 v5, 1
	s_and_saveexec_b64 s[4:5], vcc
; %bb.930:
	v_mov_b32_e32 v3, v6
	v_mov_b32_e32 v1, v2
	;; [unrolled: 1-line block ×3, first 2 shown]
; %bb.931:
	s_or_b64 exec, exec, s[4:5]
                                        ; implicit-def: $vgpr2
                                        ; implicit-def: $vgpr6
.LBB32_932:
	s_andn2_saveexec_b64 s[0:1], s[0:1]
; %bb.933:
	v_cmp_lt_f32_e32 vcc, v2, v1
	v_cndmask_b32_e32 v1, v1, v2, vcc
	v_cmp_gt_f32_e32 vcc, v6, v3
	v_cndmask_b32_e32 v3, v3, v6, vcc
	v_mov_b32_e32 v5, 1
; %bb.934:
	s_or_b64 exec, exec, s[0:1]
	s_nop 0
	v_mov_b32_dpp v6, v5 row_ror:4 row_mask:0xf bank_mask:0xf bound_ctrl:1
	v_and_b32_e32 v7, 1, v6
	v_and_b32_e32 v6, v6, v5
	;; [unrolled: 1-line block ×3, first 2 shown]
	v_mov_b32_dpp v2, v1 row_ror:4 row_mask:0xf bank_mask:0xf bound_ctrl:1
	v_mov_b32_dpp v4, v3 row_ror:4 row_mask:0xf bank_mask:0xf bound_ctrl:1
	v_cmp_ne_u32_e32 vcc, 1, v7
	v_cmp_ne_u32_e64 s[0:1], 1, v6
                                        ; implicit-def: $vgpr6
	s_and_saveexec_b64 s[4:5], s[0:1]
	s_xor_b64 s[0:1], exec, s[4:5]
	s_cbranch_execz .LBB32_938
; %bb.935:
	v_mov_b32_e32 v6, 1
	s_and_saveexec_b64 s[4:5], vcc
; %bb.936:
	v_mov_b32_e32 v4, v3
	v_mov_b32_e32 v2, v1
	;; [unrolled: 1-line block ×3, first 2 shown]
; %bb.937:
	s_or_b64 exec, exec, s[4:5]
                                        ; implicit-def: $vgpr1
                                        ; implicit-def: $vgpr3
.LBB32_938:
	s_andn2_saveexec_b64 s[0:1], s[0:1]
; %bb.939:
	v_cmp_lt_f32_e32 vcc, v1, v2
	v_cndmask_b32_e32 v2, v2, v1, vcc
	v_cmp_gt_f32_e32 vcc, v3, v4
	v_cndmask_b32_e32 v4, v4, v3, vcc
	v_mov_b32_e32 v6, 1
; %bb.940:
	s_or_b64 exec, exec, s[0:1]
	s_nop 0
	v_mov_b32_dpp v5, v6 row_ror:8 row_mask:0xf bank_mask:0xf bound_ctrl:1
	v_and_b32_e32 v7, 1, v5
	v_and_b32_e32 v5, v5, v6
	;; [unrolled: 1-line block ×3, first 2 shown]
	v_mov_b32_dpp v1, v2 row_ror:8 row_mask:0xf bank_mask:0xf bound_ctrl:1
	v_mov_b32_dpp v3, v4 row_ror:8 row_mask:0xf bank_mask:0xf bound_ctrl:1
	v_cmp_ne_u32_e32 vcc, 1, v7
	v_cmp_ne_u32_e64 s[0:1], 1, v5
                                        ; implicit-def: $vgpr5
	s_and_saveexec_b64 s[4:5], s[0:1]
	s_xor_b64 s[0:1], exec, s[4:5]
	s_cbranch_execz .LBB32_944
; %bb.941:
	v_mov_b32_e32 v5, 1
	s_and_saveexec_b64 s[4:5], vcc
; %bb.942:
	v_mov_b32_e32 v3, v4
	v_mov_b32_e32 v1, v2
	;; [unrolled: 1-line block ×3, first 2 shown]
; %bb.943:
	s_or_b64 exec, exec, s[4:5]
                                        ; implicit-def: $vgpr2
                                        ; implicit-def: $vgpr4
.LBB32_944:
	s_andn2_saveexec_b64 s[0:1], s[0:1]
; %bb.945:
	v_cmp_lt_f32_e32 vcc, v2, v1
	v_cndmask_b32_e32 v1, v1, v2, vcc
	v_cmp_gt_f32_e32 vcc, v4, v3
	v_cndmask_b32_e32 v3, v3, v4, vcc
	v_mov_b32_e32 v5, 1
; %bb.946:
	s_or_b64 exec, exec, s[0:1]
	s_nop 0
	v_mov_b32_dpp v6, v5 row_bcast:15 row_mask:0xf bank_mask:0xf bound_ctrl:1
	v_and_b32_e32 v7, 1, v6
	v_and_b32_e32 v6, v6, v5
	v_and_b32_e32 v6, 1, v6
	v_mov_b32_dpp v2, v1 row_bcast:15 row_mask:0xf bank_mask:0xf bound_ctrl:1
	v_mov_b32_dpp v4, v3 row_bcast:15 row_mask:0xf bank_mask:0xf bound_ctrl:1
	v_cmp_ne_u32_e32 vcc, 1, v7
	v_cmp_ne_u32_e64 s[0:1], 1, v6
                                        ; implicit-def: $vgpr6
	s_and_saveexec_b64 s[4:5], s[0:1]
	s_xor_b64 s[0:1], exec, s[4:5]
	s_cbranch_execz .LBB32_950
; %bb.947:
	v_mov_b32_e32 v6, 1
	s_and_saveexec_b64 s[4:5], vcc
; %bb.948:
	v_mov_b32_e32 v4, v3
	v_mov_b32_e32 v2, v1
	;; [unrolled: 1-line block ×3, first 2 shown]
; %bb.949:
	s_or_b64 exec, exec, s[4:5]
                                        ; implicit-def: $vgpr1
                                        ; implicit-def: $vgpr3
.LBB32_950:
	s_andn2_saveexec_b64 s[0:1], s[0:1]
; %bb.951:
	v_cmp_lt_f32_e32 vcc, v1, v2
	v_cndmask_b32_e32 v2, v2, v1, vcc
	v_cmp_gt_f32_e32 vcc, v3, v4
	v_cndmask_b32_e32 v4, v4, v3, vcc
	v_mov_b32_e32 v6, 1
; %bb.952:
	s_or_b64 exec, exec, s[0:1]
	s_nop 0
	v_mov_b32_dpp v5, v6 row_bcast:31 row_mask:0xf bank_mask:0xf bound_ctrl:1
	v_and_b32_e32 v7, 1, v5
	v_and_b32_e32 v5, v5, v6
	;; [unrolled: 1-line block ×3, first 2 shown]
	v_mov_b32_dpp v1, v2 row_bcast:31 row_mask:0xf bank_mask:0xf bound_ctrl:1
	v_mov_b32_dpp v3, v4 row_bcast:31 row_mask:0xf bank_mask:0xf bound_ctrl:1
	v_cmp_ne_u32_e32 vcc, 1, v7
	v_cmp_ne_u32_e64 s[0:1], 1, v5
                                        ; implicit-def: $vgpr5
	s_and_saveexec_b64 s[4:5], s[0:1]
	s_xor_b64 s[0:1], exec, s[4:5]
	s_cbranch_execz .LBB32_956
; %bb.953:
	v_mov_b32_e32 v5, 1
	s_and_saveexec_b64 s[4:5], vcc
; %bb.954:
	v_mov_b32_e32 v3, v4
	v_mov_b32_e32 v1, v2
	;; [unrolled: 1-line block ×3, first 2 shown]
; %bb.955:
	s_or_b64 exec, exec, s[4:5]
                                        ; implicit-def: $vgpr2
                                        ; implicit-def: $vgpr4
.LBB32_956:
	s_andn2_saveexec_b64 s[0:1], s[0:1]
; %bb.957:
	v_cmp_lt_f32_e32 vcc, v2, v1
	v_cndmask_b32_e32 v1, v1, v2, vcc
	v_cmp_gt_f32_e32 vcc, v4, v3
	v_cndmask_b32_e32 v3, v3, v4, vcc
	v_mov_b32_e32 v5, 1
; %bb.958:
	s_or_b64 exec, exec, s[0:1]
	v_mbcnt_lo_u32_b32 v2, -1, 0
	v_mbcnt_hi_u32_b32 v4, -1, v2
	v_lshlrev_b32_e32 v6, 2, v4
	v_or_b32_e32 v2, 0xfc, v6
	ds_bpermute_b32 v5, v2, v5
	ds_bpermute_b32 v1, v2, v1
	;; [unrolled: 1-line block ×3, first 2 shown]
	v_cmp_eq_u32_e32 vcc, 0, v4
	s_and_saveexec_b64 s[0:1], vcc
	s_cbranch_execz .LBB32_960
; %bb.959:
	v_lshrrev_b32_e32 v3, 6, v0
	v_mul_u32_u24_e32 v3, 12, v3
	s_waitcnt lgkmcnt(2)
	ds_write_b8 v3, v5 offset:64
	s_waitcnt lgkmcnt(1)
	ds_write2_b32 v3, v1, v2 offset0:17 offset1:18
.LBB32_960:
	s_or_b64 exec, exec, s[0:1]
	v_cmp_gt_u32_e32 vcc, 64, v0
	s_waitcnt lgkmcnt(0)
	s_barrier
	s_and_saveexec_b64 s[0:1], vcc
	s_cbranch_execz .LBB32_968
; %bb.961:
	v_and_b32_e32 v1, 1, v4
	v_mul_u32_u24_e32 v1, 12, v1
	ds_read_u8 v7, v1 offset:64
	ds_read2_b32 v[3:4], v1 offset0:17 offset1:18
	v_or_b32_e32 v2, 4, v6
	s_waitcnt lgkmcnt(1)
	v_and_b32_e32 v1, 0xff, v7
	ds_bpermute_b32 v6, v2, v1
	s_waitcnt lgkmcnt(1)
	ds_bpermute_b32 v1, v2, v3
	ds_bpermute_b32 v2, v2, v4
	s_waitcnt lgkmcnt(2)
	v_and_b32_e32 v5, v7, v6
	v_and_b32_e32 v5, 1, v5
	v_cmp_eq_u32_e32 vcc, 1, v5
	s_and_saveexec_b64 s[4:5], vcc
	s_xor_b64 s[4:5], exec, s[4:5]
	s_cbranch_execz .LBB32_963
; %bb.962:
	s_waitcnt lgkmcnt(1)
	v_cmp_gt_f32_e32 vcc, v3, v1
	v_cndmask_b32_e32 v1, v3, v1, vcc
	s_waitcnt lgkmcnt(0)
	v_cmp_lt_f32_e32 vcc, v4, v2
	v_cndmask_b32_e32 v2, v4, v2, vcc
                                        ; implicit-def: $vgpr4
                                        ; implicit-def: $vgpr6
                                        ; implicit-def: $vgpr7
.LBB32_963:
	s_or_saveexec_b64 s[4:5], s[4:5]
	v_mov_b32_e32 v5, 1
	s_xor_b64 exec, exec, s[4:5]
	s_cbranch_execz .LBB32_967
; %bb.964:
	v_and_b32_e32 v5, 1, v7
	v_cmp_eq_u32_e32 vcc, 1, v5
	s_and_saveexec_b64 s[8:9], vcc
	s_cbranch_execz .LBB32_966
; %bb.965:
	v_mov_b32_e32 v6, 1
	s_waitcnt lgkmcnt(0)
	v_mov_b32_e32 v2, v4
	v_mov_b32_e32 v1, v3
.LBB32_966:
	s_or_b64 exec, exec, s[8:9]
	v_mov_b32_e32 v5, v6
.LBB32_967:
	s_or_b64 exec, exec, s[4:5]
.LBB32_968:
	s_or_b64 exec, exec, s[0:1]
	s_branch .LBB32_1037
.LBB32_969:
                                        ; implicit-def: $vgpr4
                                        ; implicit-def: $vgpr6
                                        ; implicit-def: $sgpr6_sgpr7
.LBB32_970:
	s_and_saveexec_b64 s[0:1], s[16:17]
	s_cbranch_execz .LBB32_972
.LBB32_971:
	s_mul_i32 s0, s7, 12
	s_mul_hi_u32 s1, s6, 12
	s_add_i32 s1, s1, s0
	s_mul_i32 s0, s6, 12
	s_add_u32 s0, s42, s0
	s_addc_u32 s1, s43, s1
	v_mov_b32_e32 v0, 0
	s_waitcnt lgkmcnt(0)
	global_store_byte v0, v6, s[0:1]
	global_store_dwordx2 v0, v[3:4], s[0:1] offset:4
.LBB32_972:
	s_endpgm
.LBB32_973:
                                        ; implicit-def: $vgpr2
                                        ; implicit-def: $vgpr5
	s_cbranch_execz .LBB32_1037
; %bb.974:
	s_sub_i32 s4, s40, s2
	v_cmp_gt_u32_e32 vcc, s4, v0
	v_mov_b32_e32 v9, 0
	s_waitcnt lgkmcnt(0)
	v_mov_b32_e32 v2, 0
	s_and_saveexec_b64 s[0:1], vcc
	s_cbranch_execz .LBB32_976
; %bb.975:
	s_add_i32 s5, s45, s2
	s_lshl_b64 s[2:3], s[2:3], 2
	s_add_u32 s2, s36, s2
	s_addc_u32 s3, s37, s3
	v_lshlrev_b32_e32 v1, 2, v0
	global_load_dword v2, v1, s[2:3]
	s_abs_i32 s2, s39
	v_cvt_f32_u32_e32 v1, s2
	s_sub_i32 s3, 0, s2
	v_add_u32_e32 v4, s5, v0
	v_sub_u32_e32 v5, 0, v4
	v_rcp_iflag_f32_e32 v1, v1
	v_max_i32_e32 v5, v4, v5
	v_mul_f32_e32 v1, 0x4f7ffffe, v1
	v_cvt_u32_f32_e32 v1, v1
	v_mul_lo_u32 v3, s3, v1
	v_mul_hi_u32 v3, v1, v3
	v_add_u32_e32 v1, v1, v3
	v_mul_hi_u32 v1, v5, v1
	v_ashrrev_i32_e32 v3, 31, v4
	v_mul_lo_u32 v1, v1, s2
	v_sub_u32_e32 v1, v5, v1
	v_subrev_u32_e32 v4, s2, v1
	v_cmp_le_u32_e32 vcc, s2, v1
	v_cndmask_b32_e32 v1, v1, v4, vcc
	v_subrev_u32_e32 v4, s2, v1
	v_cmp_le_u32_e32 vcc, s2, v1
	v_cndmask_b32_e32 v1, v1, v4, vcc
	v_xor_b32_e32 v1, v1, v3
	v_sub_u32_e32 v1, v1, v3
	v_cmp_gt_i32_e32 vcc, s38, v1
	v_cndmask_b32_e64 v9, 0, 1, vcc
.LBB32_976:
	s_or_b64 exec, exec, s[0:1]
	v_mbcnt_lo_u32_b32 v1, -1, 0
	v_mbcnt_hi_u32_b32 v3, -1, v1
	v_and_b32_e32 v6, 63, v3
	s_min_u32 s8, s4, 0x80
	v_and_b32_e32 v1, 64, v0
	v_cmp_ne_u32_e32 vcc, 63, v6
	v_sub_u32_e64 v4, s8, v1 clamp
	v_addc_co_u32_e32 v1, vcc, 0, v3, vcc
	v_and_b32_e32 v5, 0xffff, v9
	v_lshlrev_b32_e32 v1, 2, v1
	ds_bpermute_b32 v10, v1, v5
	s_waitcnt vmcnt(0)
	ds_bpermute_b32 v8, v1, v2
	v_add_u32_e32 v1, 1, v6
	v_cmp_lt_u32_e32 vcc, v1, v4
	v_mov_b32_e32 v7, v2
	v_mov_b32_e32 v1, v2
	s_and_saveexec_b64 s[0:1], vcc
	s_cbranch_execz .LBB32_984
; %bb.977:
	s_waitcnt lgkmcnt(1)
	v_and_b32_e32 v1, v10, v5
	v_and_b32_e32 v1, 1, v1
	v_cmp_eq_u32_e32 vcc, 1, v1
	s_and_saveexec_b64 s[2:3], vcc
	s_xor_b64 s[2:3], exec, s[2:3]
	s_cbranch_execz .LBB32_979
; %bb.978:
	s_waitcnt lgkmcnt(0)
	v_cmp_gt_f32_e32 vcc, v2, v8
	v_cndmask_b32_e32 v1, v2, v8, vcc
	v_cmp_lt_f32_e32 vcc, v2, v8
	v_cndmask_b32_e32 v2, v2, v8, vcc
	v_mov_b32_e32 v8, v1
                                        ; implicit-def: $vgpr10
                                        ; implicit-def: $vgpr9
.LBB32_979:
	s_or_saveexec_b64 s[2:3], s[2:3]
	v_mov_b32_e32 v1, 1
	s_xor_b64 exec, exec, s[2:3]
	s_cbranch_execz .LBB32_983
; %bb.980:
	v_and_b32_e32 v1, 1, v9
	v_cmp_eq_u32_e32 vcc, 1, v1
	s_and_saveexec_b64 s[4:5], vcc
	s_cbranch_execz .LBB32_982
; %bb.981:
	v_mov_b32_e32 v10, 1
	s_waitcnt lgkmcnt(0)
	v_mov_b32_e32 v8, v2
.LBB32_982:
	s_or_b64 exec, exec, s[4:5]
	v_mov_b32_e32 v1, v10
	s_waitcnt lgkmcnt(0)
	v_mov_b32_e32 v2, v8
.LBB32_983:
	s_or_b64 exec, exec, s[2:3]
	v_and_b32_e32 v5, 0xff, v1
	s_waitcnt lgkmcnt(0)
	v_mov_b32_e32 v7, v8
	v_mov_b32_e32 v1, v8
.LBB32_984:
	s_or_b64 exec, exec, s[0:1]
	v_cmp_gt_u32_e32 vcc, 62, v6
	s_waitcnt lgkmcnt(0)
	v_cndmask_b32_e64 v8, 0, 2, vcc
	v_add_lshl_u32 v9, v8, v3, 2
	ds_bpermute_b32 v10, v9, v5
	ds_bpermute_b32 v8, v9, v7
	ds_bpermute_b32 v9, v9, v2
	v_add_u32_e32 v11, 2, v6
	v_cmp_lt_u32_e32 vcc, v11, v4
	s_and_saveexec_b64 s[0:1], vcc
	s_cbranch_execz .LBB32_992
; %bb.985:
	s_waitcnt lgkmcnt(2)
	v_and_b32_e32 v7, v5, v10
	v_and_b32_e32 v7, 1, v7
	v_cmp_eq_u32_e32 vcc, 1, v7
	s_and_saveexec_b64 s[2:3], vcc
	s_xor_b64 s[2:3], exec, s[2:3]
	s_cbranch_execz .LBB32_987
; %bb.986:
	s_waitcnt lgkmcnt(1)
	v_cmp_gt_f32_e32 vcc, v1, v8
	v_cndmask_b32_e32 v8, v1, v8, vcc
	s_waitcnt lgkmcnt(0)
	v_cmp_lt_f32_e32 vcc, v2, v9
	v_cndmask_b32_e32 v9, v2, v9, vcc
                                        ; implicit-def: $vgpr2
                                        ; implicit-def: $vgpr10
                                        ; implicit-def: $vgpr5
.LBB32_987:
	s_or_saveexec_b64 s[2:3], s[2:3]
	v_mov_b32_e32 v7, 1
	s_xor_b64 exec, exec, s[2:3]
	s_cbranch_execz .LBB32_991
; %bb.988:
	v_and_b32_e32 v5, 1, v5
	v_cmp_eq_u32_e32 vcc, 1, v5
	s_and_saveexec_b64 s[4:5], vcc
	s_cbranch_execz .LBB32_990
; %bb.989:
	v_mov_b32_e32 v10, 1
	s_waitcnt lgkmcnt(0)
	v_mov_b32_e32 v9, v2
	v_mov_b32_e32 v8, v1
.LBB32_990:
	s_or_b64 exec, exec, s[4:5]
	v_mov_b32_e32 v7, v10
.LBB32_991:
	s_or_b64 exec, exec, s[2:3]
	v_and_b32_e32 v5, 0xff, v7
	s_waitcnt lgkmcnt(1)
	v_mov_b32_e32 v7, v8
	s_waitcnt lgkmcnt(0)
	v_mov_b32_e32 v2, v9
	v_mov_b32_e32 v1, v8
.LBB32_992:
	s_or_b64 exec, exec, s[0:1]
	v_cmp_gt_u32_e32 vcc, 60, v6
	s_waitcnt lgkmcnt(1)
	v_cndmask_b32_e64 v8, 0, 4, vcc
	s_waitcnt lgkmcnt(0)
	v_add_lshl_u32 v9, v8, v3, 2
	ds_bpermute_b32 v10, v9, v5
	ds_bpermute_b32 v8, v9, v7
	ds_bpermute_b32 v9, v9, v2
	v_add_u32_e32 v11, 4, v6
	v_cmp_lt_u32_e32 vcc, v11, v4
	s_and_saveexec_b64 s[0:1], vcc
	s_cbranch_execz .LBB32_1000
; %bb.993:
	s_waitcnt lgkmcnt(2)
	v_and_b32_e32 v7, v5, v10
	v_and_b32_e32 v7, 1, v7
	v_cmp_eq_u32_e32 vcc, 1, v7
	s_and_saveexec_b64 s[2:3], vcc
	s_xor_b64 s[2:3], exec, s[2:3]
	s_cbranch_execz .LBB32_995
; %bb.994:
	s_waitcnt lgkmcnt(1)
	v_cmp_gt_f32_e32 vcc, v1, v8
	v_cndmask_b32_e32 v8, v1, v8, vcc
	s_waitcnt lgkmcnt(0)
	v_cmp_lt_f32_e32 vcc, v2, v9
	v_cndmask_b32_e32 v9, v2, v9, vcc
                                        ; implicit-def: $vgpr2
                                        ; implicit-def: $vgpr10
                                        ; implicit-def: $vgpr5
.LBB32_995:
	s_or_saveexec_b64 s[2:3], s[2:3]
	v_mov_b32_e32 v7, 1
	s_xor_b64 exec, exec, s[2:3]
	s_cbranch_execz .LBB32_999
; %bb.996:
	v_and_b32_e32 v5, 1, v5
	v_cmp_eq_u32_e32 vcc, 1, v5
	s_and_saveexec_b64 s[4:5], vcc
	s_cbranch_execz .LBB32_998
; %bb.997:
	v_mov_b32_e32 v10, 1
	s_waitcnt lgkmcnt(0)
	v_mov_b32_e32 v9, v2
	v_mov_b32_e32 v8, v1
.LBB32_998:
	s_or_b64 exec, exec, s[4:5]
	v_mov_b32_e32 v7, v10
.LBB32_999:
	s_or_b64 exec, exec, s[2:3]
	v_and_b32_e32 v5, 0xff, v7
	s_waitcnt lgkmcnt(1)
	v_mov_b32_e32 v7, v8
	s_waitcnt lgkmcnt(0)
	v_mov_b32_e32 v2, v9
	v_mov_b32_e32 v1, v8
.LBB32_1000:
	s_or_b64 exec, exec, s[0:1]
	v_cmp_gt_u32_e32 vcc, 56, v6
	s_waitcnt lgkmcnt(1)
	v_cndmask_b32_e64 v8, 0, 8, vcc
	s_waitcnt lgkmcnt(0)
	;; [unrolled: 58-line block ×3, first 2 shown]
	v_add_lshl_u32 v9, v8, v3, 2
	ds_bpermute_b32 v10, v9, v5
	ds_bpermute_b32 v8, v9, v7
	;; [unrolled: 1-line block ×3, first 2 shown]
	v_add_u32_e32 v11, 16, v6
	v_cmp_lt_u32_e32 vcc, v11, v4
	s_and_saveexec_b64 s[0:1], vcc
	s_cbranch_execz .LBB32_1016
; %bb.1009:
	s_waitcnt lgkmcnt(2)
	v_and_b32_e32 v7, v5, v10
	v_and_b32_e32 v7, 1, v7
	v_cmp_eq_u32_e32 vcc, 1, v7
	s_and_saveexec_b64 s[2:3], vcc
	s_xor_b64 s[2:3], exec, s[2:3]
	s_cbranch_execz .LBB32_1011
; %bb.1010:
	s_waitcnt lgkmcnt(1)
	v_cmp_gt_f32_e32 vcc, v1, v8
	v_cndmask_b32_e32 v8, v1, v8, vcc
	s_waitcnt lgkmcnt(0)
	v_cmp_lt_f32_e32 vcc, v2, v9
	v_cndmask_b32_e32 v9, v2, v9, vcc
                                        ; implicit-def: $vgpr2
                                        ; implicit-def: $vgpr10
                                        ; implicit-def: $vgpr5
.LBB32_1011:
	s_or_saveexec_b64 s[2:3], s[2:3]
	v_mov_b32_e32 v7, 1
	s_xor_b64 exec, exec, s[2:3]
	s_cbranch_execz .LBB32_1015
; %bb.1012:
	v_and_b32_e32 v5, 1, v5
	v_cmp_eq_u32_e32 vcc, 1, v5
	s_and_saveexec_b64 s[4:5], vcc
	s_cbranch_execz .LBB32_1014
; %bb.1013:
	v_mov_b32_e32 v10, 1
	s_waitcnt lgkmcnt(0)
	v_mov_b32_e32 v9, v2
	v_mov_b32_e32 v8, v1
.LBB32_1014:
	s_or_b64 exec, exec, s[4:5]
	v_mov_b32_e32 v7, v10
.LBB32_1015:
	s_or_b64 exec, exec, s[2:3]
	v_and_b32_e32 v5, 0xff, v7
	s_waitcnt lgkmcnt(1)
	v_mov_b32_e32 v7, v8
	s_waitcnt lgkmcnt(0)
	v_mov_b32_e32 v2, v9
	v_mov_b32_e32 v1, v8
.LBB32_1016:
	s_or_b64 exec, exec, s[0:1]
	s_waitcnt lgkmcnt(1)
	v_lshlrev_b32_e32 v8, 2, v3
	s_waitcnt lgkmcnt(0)
	v_or_b32_e32 v9, 0x80, v8
	ds_bpermute_b32 v10, v9, v5
	ds_bpermute_b32 v7, v9, v7
	;; [unrolled: 1-line block ×3, first 2 shown]
	v_add_u32_e32 v6, 32, v6
	v_cmp_lt_u32_e32 vcc, v6, v4
	v_mov_b32_e32 v4, v5
	s_and_saveexec_b64 s[0:1], vcc
	s_cbranch_execz .LBB32_1024
; %bb.1017:
	s_waitcnt lgkmcnt(2)
	v_and_b32_e32 v4, v5, v10
	v_and_b32_e32 v4, 1, v4
	v_cmp_eq_u32_e32 vcc, 1, v4
	s_and_saveexec_b64 s[2:3], vcc
	s_xor_b64 s[2:3], exec, s[2:3]
	s_cbranch_execz .LBB32_1019
; %bb.1018:
	s_waitcnt lgkmcnt(1)
	v_cmp_gt_f32_e32 vcc, v1, v7
	v_cndmask_b32_e32 v7, v1, v7, vcc
	s_waitcnt lgkmcnt(0)
	v_cmp_lt_f32_e32 vcc, v2, v9
	v_cndmask_b32_e32 v9, v2, v9, vcc
                                        ; implicit-def: $vgpr2
                                        ; implicit-def: $vgpr10
                                        ; implicit-def: $vgpr5
.LBB32_1019:
	s_or_saveexec_b64 s[2:3], s[2:3]
	v_mov_b32_e32 v4, 1
	s_xor_b64 exec, exec, s[2:3]
	s_cbranch_execz .LBB32_1023
; %bb.1020:
	v_and_b32_e32 v4, 1, v5
	v_cmp_eq_u32_e32 vcc, 1, v4
	s_and_saveexec_b64 s[4:5], vcc
	s_cbranch_execz .LBB32_1022
; %bb.1021:
	v_mov_b32_e32 v10, 1
	s_waitcnt lgkmcnt(0)
	v_mov_b32_e32 v9, v2
	v_mov_b32_e32 v7, v1
.LBB32_1022:
	s_or_b64 exec, exec, s[4:5]
	v_mov_b32_e32 v4, v10
.LBB32_1023:
	s_or_b64 exec, exec, s[2:3]
	v_and_b32_e32 v5, 0xff, v4
	s_waitcnt lgkmcnt(0)
	v_mov_b32_e32 v2, v9
	v_mov_b32_e32 v1, v7
.LBB32_1024:
	s_or_b64 exec, exec, s[0:1]
	v_cmp_eq_u32_e32 vcc, 0, v3
	s_and_saveexec_b64 s[0:1], vcc
	s_cbranch_execz .LBB32_1026
; %bb.1025:
	v_lshrrev_b32_e32 v6, 6, v0
	v_mul_u32_u24_e32 v6, 12, v6
	ds_write_b8 v6, v4
	ds_write2_b32 v6, v1, v2 offset0:1 offset1:2
.LBB32_1026:
	s_or_b64 exec, exec, s[0:1]
	v_cmp_gt_u32_e32 vcc, 2, v0
	s_waitcnt lgkmcnt(0)
	s_barrier
	s_and_saveexec_b64 s[0:1], vcc
	s_cbranch_execz .LBB32_1036
; %bb.1027:
	v_mul_u32_u24_e32 v1, 12, v3
	ds_read_u8 v9, v1
	ds_read2_b32 v[1:2], v1 offset0:1 offset1:2
	v_or_b32_e32 v6, 4, v8
	s_add_i32 s8, s8, 63
	v_and_b32_e32 v3, 1, v3
	s_waitcnt lgkmcnt(1)
	v_and_b32_e32 v5, 0xff, v9
	s_waitcnt lgkmcnt(0)
	ds_bpermute_b32 v4, v6, v1
	ds_bpermute_b32 v7, v6, v5
	;; [unrolled: 1-line block ×3, first 2 shown]
	s_lshr_b32 s2, s8, 6
	v_add_u32_e32 v3, 1, v3
	v_cmp_gt_u32_e32 vcc, s2, v3
	s_and_saveexec_b64 s[2:3], vcc
	s_cbranch_execz .LBB32_1035
; %bb.1028:
	s_waitcnt lgkmcnt(1)
	v_and_b32_e32 v3, v5, v7
	v_and_b32_e32 v3, 1, v3
	v_cmp_eq_u32_e32 vcc, 1, v3
	s_and_saveexec_b64 s[4:5], vcc
	s_xor_b64 s[4:5], exec, s[4:5]
	s_cbranch_execz .LBB32_1030
; %bb.1029:
	v_cmp_gt_f32_e32 vcc, v1, v4
	v_cndmask_b32_e32 v4, v1, v4, vcc
	s_waitcnt lgkmcnt(0)
	v_cmp_lt_f32_e32 vcc, v2, v6
	v_cndmask_b32_e32 v6, v2, v6, vcc
                                        ; implicit-def: $vgpr2
                                        ; implicit-def: $vgpr7
                                        ; implicit-def: $vgpr9
.LBB32_1030:
	s_or_saveexec_b64 s[4:5], s[4:5]
	v_mov_b32_e32 v5, 1
	s_xor_b64 exec, exec, s[4:5]
	s_cbranch_execz .LBB32_1034
; %bb.1031:
	v_and_b32_e32 v3, 1, v9
	v_cmp_eq_u32_e32 vcc, 1, v3
	s_and_saveexec_b64 s[8:9], vcc
	s_cbranch_execz .LBB32_1033
; %bb.1032:
	v_mov_b32_e32 v7, 1
	s_waitcnt lgkmcnt(0)
	v_mov_b32_e32 v6, v2
	v_mov_b32_e32 v4, v1
.LBB32_1033:
	s_or_b64 exec, exec, s[8:9]
	v_mov_b32_e32 v5, v7
.LBB32_1034:
	s_or_b64 exec, exec, s[4:5]
	s_waitcnt lgkmcnt(0)
	v_mov_b32_e32 v2, v6
	v_mov_b32_e32 v1, v4
.LBB32_1035:
	s_or_b64 exec, exec, s[2:3]
.LBB32_1036:
	s_or_b64 exec, exec, s[0:1]
.LBB32_1037:
	v_cmp_eq_u32_e32 vcc, 0, v0
                                        ; implicit-def: $vgpr4
                                        ; implicit-def: $vgpr6
	s_and_saveexec_b64 s[2:3], vcc
	s_cbranch_execz .LBB32_1045
; %bb.1038:
	s_cmp_eq_u64 s[40:41], 0
	s_waitcnt lgkmcnt(2)
	v_mov_b32_e32 v4, s35
	v_mov_b32_e32 v3, s34
	s_waitcnt lgkmcnt(0)
	v_mov_b32_e32 v6, s33
	s_cbranch_scc1 .LBB32_1044
; %bb.1039:
	s_bitcmp1_b32 s33, 0
	v_and_b32_e32 v0, 1, v5
	s_cselect_b64 vcc, -1, 0
	v_cmp_eq_u32_e64 s[0:1], 1, v0
	s_and_b64 s[0:1], vcc, s[0:1]
	s_xor_b64 s[0:1], s[0:1], -1
                                        ; implicit-def: $vgpr4
                                        ; implicit-def: $vgpr6
	s_and_saveexec_b64 s[4:5], s[0:1]
	s_xor_b64 s[0:1], exec, s[4:5]
; %bb.1040:
	v_mov_b32_e32 v0, s34
	v_cndmask_b32_e32 v3, v1, v0, vcc
	v_mov_b32_e32 v0, s35
	v_cndmask_b32_e64 v6, v5, 1, vcc
	v_cndmask_b32_e32 v4, v2, v0, vcc
                                        ; implicit-def: $vgpr1
; %bb.1041:
	s_andn2_saveexec_b64 s[0:1], s[0:1]
; %bb.1042:
	v_mov_b32_e32 v0, s34
	v_cmp_gt_f32_e32 vcc, s34, v1
	v_cndmask_b32_e32 v3, v0, v1, vcc
	v_mov_b32_e32 v0, s35
	v_cmp_lt_f32_e32 vcc, s35, v2
	v_cndmask_b32_e32 v4, v0, v2, vcc
	v_mov_b32_e32 v6, 1
; %bb.1043:
	s_or_b64 exec, exec, s[0:1]
.LBB32_1044:
	s_or_b64 s[16:17], s[16:17], exec
.LBB32_1045:
	s_or_b64 exec, exec, s[2:3]
	s_and_saveexec_b64 s[0:1], s[16:17]
	s_cbranch_execnz .LBB32_971
	s_branch .LBB32_972
	.section	.rodata,"a",@progbits
	.p2align	6, 0x0
	.amdhsa_kernel _ZN7rocprim17ROCPRIM_400000_NS6detail17trampoline_kernelINS0_14default_configENS1_22reduce_config_selectorIN6thrust23THRUST_200600_302600_NS5tupleIbffNS6_9null_typeES8_S8_S8_S8_S8_S8_EEEEZNS1_11reduce_implILb1ES3_NS6_11hip_rocprim26transform_input_iterator_tIS9_NS6_12zip_iteratorINS7_INS6_17counting_iteratorIiNS6_11use_defaultESG_SG_EENS6_6detail15normal_iteratorINS6_10device_ptrIfEEEES8_S8_S8_S8_S8_S8_S8_S8_EEEE15transform_tupleIifEEEPS9_S9_12reduce_tupleIifEEE10hipError_tPvRmT1_T2_T3_mT4_P12ihipStream_tbEUlT_E1_NS1_11comp_targetILNS1_3genE2ELNS1_11target_archE906ELNS1_3gpuE6ELNS1_3repE0EEENS1_30default_config_static_selectorELNS0_4arch9wavefront6targetE1EEEvSY_
		.amdhsa_group_segment_fixed_size 184
		.amdhsa_private_segment_fixed_size 0
		.amdhsa_kernarg_size 64
		.amdhsa_user_sgpr_count 6
		.amdhsa_user_sgpr_private_segment_buffer 1
		.amdhsa_user_sgpr_dispatch_ptr 0
		.amdhsa_user_sgpr_queue_ptr 0
		.amdhsa_user_sgpr_kernarg_segment_ptr 1
		.amdhsa_user_sgpr_dispatch_id 0
		.amdhsa_user_sgpr_flat_scratch_init 0
		.amdhsa_user_sgpr_private_segment_size 0
		.amdhsa_uses_dynamic_stack 0
		.amdhsa_system_sgpr_private_segment_wavefront_offset 0
		.amdhsa_system_sgpr_workgroup_id_x 1
		.amdhsa_system_sgpr_workgroup_id_y 0
		.amdhsa_system_sgpr_workgroup_id_z 0
		.amdhsa_system_sgpr_workgroup_info 0
		.amdhsa_system_vgpr_workitem_id 0
		.amdhsa_next_free_vgpr 36
		.amdhsa_next_free_sgpr 54
		.amdhsa_reserve_vcc 1
		.amdhsa_reserve_flat_scratch 0
		.amdhsa_float_round_mode_32 0
		.amdhsa_float_round_mode_16_64 0
		.amdhsa_float_denorm_mode_32 3
		.amdhsa_float_denorm_mode_16_64 3
		.amdhsa_dx10_clamp 1
		.amdhsa_ieee_mode 1
		.amdhsa_fp16_overflow 0
		.amdhsa_exception_fp_ieee_invalid_op 0
		.amdhsa_exception_fp_denorm_src 0
		.amdhsa_exception_fp_ieee_div_zero 0
		.amdhsa_exception_fp_ieee_overflow 0
		.amdhsa_exception_fp_ieee_underflow 0
		.amdhsa_exception_fp_ieee_inexact 0
		.amdhsa_exception_int_div_zero 0
	.end_amdhsa_kernel
	.section	.text._ZN7rocprim17ROCPRIM_400000_NS6detail17trampoline_kernelINS0_14default_configENS1_22reduce_config_selectorIN6thrust23THRUST_200600_302600_NS5tupleIbffNS6_9null_typeES8_S8_S8_S8_S8_S8_EEEEZNS1_11reduce_implILb1ES3_NS6_11hip_rocprim26transform_input_iterator_tIS9_NS6_12zip_iteratorINS7_INS6_17counting_iteratorIiNS6_11use_defaultESG_SG_EENS6_6detail15normal_iteratorINS6_10device_ptrIfEEEES8_S8_S8_S8_S8_S8_S8_S8_EEEE15transform_tupleIifEEEPS9_S9_12reduce_tupleIifEEE10hipError_tPvRmT1_T2_T3_mT4_P12ihipStream_tbEUlT_E1_NS1_11comp_targetILNS1_3genE2ELNS1_11target_archE906ELNS1_3gpuE6ELNS1_3repE0EEENS1_30default_config_static_selectorELNS0_4arch9wavefront6targetE1EEEvSY_,"axG",@progbits,_ZN7rocprim17ROCPRIM_400000_NS6detail17trampoline_kernelINS0_14default_configENS1_22reduce_config_selectorIN6thrust23THRUST_200600_302600_NS5tupleIbffNS6_9null_typeES8_S8_S8_S8_S8_S8_EEEEZNS1_11reduce_implILb1ES3_NS6_11hip_rocprim26transform_input_iterator_tIS9_NS6_12zip_iteratorINS7_INS6_17counting_iteratorIiNS6_11use_defaultESG_SG_EENS6_6detail15normal_iteratorINS6_10device_ptrIfEEEES8_S8_S8_S8_S8_S8_S8_S8_EEEE15transform_tupleIifEEEPS9_S9_12reduce_tupleIifEEE10hipError_tPvRmT1_T2_T3_mT4_P12ihipStream_tbEUlT_E1_NS1_11comp_targetILNS1_3genE2ELNS1_11target_archE906ELNS1_3gpuE6ELNS1_3repE0EEENS1_30default_config_static_selectorELNS0_4arch9wavefront6targetE1EEEvSY_,comdat
.Lfunc_end32:
	.size	_ZN7rocprim17ROCPRIM_400000_NS6detail17trampoline_kernelINS0_14default_configENS1_22reduce_config_selectorIN6thrust23THRUST_200600_302600_NS5tupleIbffNS6_9null_typeES8_S8_S8_S8_S8_S8_EEEEZNS1_11reduce_implILb1ES3_NS6_11hip_rocprim26transform_input_iterator_tIS9_NS6_12zip_iteratorINS7_INS6_17counting_iteratorIiNS6_11use_defaultESG_SG_EENS6_6detail15normal_iteratorINS6_10device_ptrIfEEEES8_S8_S8_S8_S8_S8_S8_S8_EEEE15transform_tupleIifEEEPS9_S9_12reduce_tupleIifEEE10hipError_tPvRmT1_T2_T3_mT4_P12ihipStream_tbEUlT_E1_NS1_11comp_targetILNS1_3genE2ELNS1_11target_archE906ELNS1_3gpuE6ELNS1_3repE0EEENS1_30default_config_static_selectorELNS0_4arch9wavefront6targetE1EEEvSY_, .Lfunc_end32-_ZN7rocprim17ROCPRIM_400000_NS6detail17trampoline_kernelINS0_14default_configENS1_22reduce_config_selectorIN6thrust23THRUST_200600_302600_NS5tupleIbffNS6_9null_typeES8_S8_S8_S8_S8_S8_EEEEZNS1_11reduce_implILb1ES3_NS6_11hip_rocprim26transform_input_iterator_tIS9_NS6_12zip_iteratorINS7_INS6_17counting_iteratorIiNS6_11use_defaultESG_SG_EENS6_6detail15normal_iteratorINS6_10device_ptrIfEEEES8_S8_S8_S8_S8_S8_S8_S8_EEEE15transform_tupleIifEEEPS9_S9_12reduce_tupleIifEEE10hipError_tPvRmT1_T2_T3_mT4_P12ihipStream_tbEUlT_E1_NS1_11comp_targetILNS1_3genE2ELNS1_11target_archE906ELNS1_3gpuE6ELNS1_3repE0EEENS1_30default_config_static_selectorELNS0_4arch9wavefront6targetE1EEEvSY_
                                        ; -- End function
	.set _ZN7rocprim17ROCPRIM_400000_NS6detail17trampoline_kernelINS0_14default_configENS1_22reduce_config_selectorIN6thrust23THRUST_200600_302600_NS5tupleIbffNS6_9null_typeES8_S8_S8_S8_S8_S8_EEEEZNS1_11reduce_implILb1ES3_NS6_11hip_rocprim26transform_input_iterator_tIS9_NS6_12zip_iteratorINS7_INS6_17counting_iteratorIiNS6_11use_defaultESG_SG_EENS6_6detail15normal_iteratorINS6_10device_ptrIfEEEES8_S8_S8_S8_S8_S8_S8_S8_EEEE15transform_tupleIifEEEPS9_S9_12reduce_tupleIifEEE10hipError_tPvRmT1_T2_T3_mT4_P12ihipStream_tbEUlT_E1_NS1_11comp_targetILNS1_3genE2ELNS1_11target_archE906ELNS1_3gpuE6ELNS1_3repE0EEENS1_30default_config_static_selectorELNS0_4arch9wavefront6targetE1EEEvSY_.num_vgpr, 36
	.set _ZN7rocprim17ROCPRIM_400000_NS6detail17trampoline_kernelINS0_14default_configENS1_22reduce_config_selectorIN6thrust23THRUST_200600_302600_NS5tupleIbffNS6_9null_typeES8_S8_S8_S8_S8_S8_EEEEZNS1_11reduce_implILb1ES3_NS6_11hip_rocprim26transform_input_iterator_tIS9_NS6_12zip_iteratorINS7_INS6_17counting_iteratorIiNS6_11use_defaultESG_SG_EENS6_6detail15normal_iteratorINS6_10device_ptrIfEEEES8_S8_S8_S8_S8_S8_S8_S8_EEEE15transform_tupleIifEEEPS9_S9_12reduce_tupleIifEEE10hipError_tPvRmT1_T2_T3_mT4_P12ihipStream_tbEUlT_E1_NS1_11comp_targetILNS1_3genE2ELNS1_11target_archE906ELNS1_3gpuE6ELNS1_3repE0EEENS1_30default_config_static_selectorELNS0_4arch9wavefront6targetE1EEEvSY_.num_agpr, 0
	.set _ZN7rocprim17ROCPRIM_400000_NS6detail17trampoline_kernelINS0_14default_configENS1_22reduce_config_selectorIN6thrust23THRUST_200600_302600_NS5tupleIbffNS6_9null_typeES8_S8_S8_S8_S8_S8_EEEEZNS1_11reduce_implILb1ES3_NS6_11hip_rocprim26transform_input_iterator_tIS9_NS6_12zip_iteratorINS7_INS6_17counting_iteratorIiNS6_11use_defaultESG_SG_EENS6_6detail15normal_iteratorINS6_10device_ptrIfEEEES8_S8_S8_S8_S8_S8_S8_S8_EEEE15transform_tupleIifEEEPS9_S9_12reduce_tupleIifEEE10hipError_tPvRmT1_T2_T3_mT4_P12ihipStream_tbEUlT_E1_NS1_11comp_targetILNS1_3genE2ELNS1_11target_archE906ELNS1_3gpuE6ELNS1_3repE0EEENS1_30default_config_static_selectorELNS0_4arch9wavefront6targetE1EEEvSY_.numbered_sgpr, 54
	.set _ZN7rocprim17ROCPRIM_400000_NS6detail17trampoline_kernelINS0_14default_configENS1_22reduce_config_selectorIN6thrust23THRUST_200600_302600_NS5tupleIbffNS6_9null_typeES8_S8_S8_S8_S8_S8_EEEEZNS1_11reduce_implILb1ES3_NS6_11hip_rocprim26transform_input_iterator_tIS9_NS6_12zip_iteratorINS7_INS6_17counting_iteratorIiNS6_11use_defaultESG_SG_EENS6_6detail15normal_iteratorINS6_10device_ptrIfEEEES8_S8_S8_S8_S8_S8_S8_S8_EEEE15transform_tupleIifEEEPS9_S9_12reduce_tupleIifEEE10hipError_tPvRmT1_T2_T3_mT4_P12ihipStream_tbEUlT_E1_NS1_11comp_targetILNS1_3genE2ELNS1_11target_archE906ELNS1_3gpuE6ELNS1_3repE0EEENS1_30default_config_static_selectorELNS0_4arch9wavefront6targetE1EEEvSY_.num_named_barrier, 0
	.set _ZN7rocprim17ROCPRIM_400000_NS6detail17trampoline_kernelINS0_14default_configENS1_22reduce_config_selectorIN6thrust23THRUST_200600_302600_NS5tupleIbffNS6_9null_typeES8_S8_S8_S8_S8_S8_EEEEZNS1_11reduce_implILb1ES3_NS6_11hip_rocprim26transform_input_iterator_tIS9_NS6_12zip_iteratorINS7_INS6_17counting_iteratorIiNS6_11use_defaultESG_SG_EENS6_6detail15normal_iteratorINS6_10device_ptrIfEEEES8_S8_S8_S8_S8_S8_S8_S8_EEEE15transform_tupleIifEEEPS9_S9_12reduce_tupleIifEEE10hipError_tPvRmT1_T2_T3_mT4_P12ihipStream_tbEUlT_E1_NS1_11comp_targetILNS1_3genE2ELNS1_11target_archE906ELNS1_3gpuE6ELNS1_3repE0EEENS1_30default_config_static_selectorELNS0_4arch9wavefront6targetE1EEEvSY_.private_seg_size, 0
	.set _ZN7rocprim17ROCPRIM_400000_NS6detail17trampoline_kernelINS0_14default_configENS1_22reduce_config_selectorIN6thrust23THRUST_200600_302600_NS5tupleIbffNS6_9null_typeES8_S8_S8_S8_S8_S8_EEEEZNS1_11reduce_implILb1ES3_NS6_11hip_rocprim26transform_input_iterator_tIS9_NS6_12zip_iteratorINS7_INS6_17counting_iteratorIiNS6_11use_defaultESG_SG_EENS6_6detail15normal_iteratorINS6_10device_ptrIfEEEES8_S8_S8_S8_S8_S8_S8_S8_EEEE15transform_tupleIifEEEPS9_S9_12reduce_tupleIifEEE10hipError_tPvRmT1_T2_T3_mT4_P12ihipStream_tbEUlT_E1_NS1_11comp_targetILNS1_3genE2ELNS1_11target_archE906ELNS1_3gpuE6ELNS1_3repE0EEENS1_30default_config_static_selectorELNS0_4arch9wavefront6targetE1EEEvSY_.uses_vcc, 1
	.set _ZN7rocprim17ROCPRIM_400000_NS6detail17trampoline_kernelINS0_14default_configENS1_22reduce_config_selectorIN6thrust23THRUST_200600_302600_NS5tupleIbffNS6_9null_typeES8_S8_S8_S8_S8_S8_EEEEZNS1_11reduce_implILb1ES3_NS6_11hip_rocprim26transform_input_iterator_tIS9_NS6_12zip_iteratorINS7_INS6_17counting_iteratorIiNS6_11use_defaultESG_SG_EENS6_6detail15normal_iteratorINS6_10device_ptrIfEEEES8_S8_S8_S8_S8_S8_S8_S8_EEEE15transform_tupleIifEEEPS9_S9_12reduce_tupleIifEEE10hipError_tPvRmT1_T2_T3_mT4_P12ihipStream_tbEUlT_E1_NS1_11comp_targetILNS1_3genE2ELNS1_11target_archE906ELNS1_3gpuE6ELNS1_3repE0EEENS1_30default_config_static_selectorELNS0_4arch9wavefront6targetE1EEEvSY_.uses_flat_scratch, 0
	.set _ZN7rocprim17ROCPRIM_400000_NS6detail17trampoline_kernelINS0_14default_configENS1_22reduce_config_selectorIN6thrust23THRUST_200600_302600_NS5tupleIbffNS6_9null_typeES8_S8_S8_S8_S8_S8_EEEEZNS1_11reduce_implILb1ES3_NS6_11hip_rocprim26transform_input_iterator_tIS9_NS6_12zip_iteratorINS7_INS6_17counting_iteratorIiNS6_11use_defaultESG_SG_EENS6_6detail15normal_iteratorINS6_10device_ptrIfEEEES8_S8_S8_S8_S8_S8_S8_S8_EEEE15transform_tupleIifEEEPS9_S9_12reduce_tupleIifEEE10hipError_tPvRmT1_T2_T3_mT4_P12ihipStream_tbEUlT_E1_NS1_11comp_targetILNS1_3genE2ELNS1_11target_archE906ELNS1_3gpuE6ELNS1_3repE0EEENS1_30default_config_static_selectorELNS0_4arch9wavefront6targetE1EEEvSY_.has_dyn_sized_stack, 0
	.set _ZN7rocprim17ROCPRIM_400000_NS6detail17trampoline_kernelINS0_14default_configENS1_22reduce_config_selectorIN6thrust23THRUST_200600_302600_NS5tupleIbffNS6_9null_typeES8_S8_S8_S8_S8_S8_EEEEZNS1_11reduce_implILb1ES3_NS6_11hip_rocprim26transform_input_iterator_tIS9_NS6_12zip_iteratorINS7_INS6_17counting_iteratorIiNS6_11use_defaultESG_SG_EENS6_6detail15normal_iteratorINS6_10device_ptrIfEEEES8_S8_S8_S8_S8_S8_S8_S8_EEEE15transform_tupleIifEEEPS9_S9_12reduce_tupleIifEEE10hipError_tPvRmT1_T2_T3_mT4_P12ihipStream_tbEUlT_E1_NS1_11comp_targetILNS1_3genE2ELNS1_11target_archE906ELNS1_3gpuE6ELNS1_3repE0EEENS1_30default_config_static_selectorELNS0_4arch9wavefront6targetE1EEEvSY_.has_recursion, 0
	.set _ZN7rocprim17ROCPRIM_400000_NS6detail17trampoline_kernelINS0_14default_configENS1_22reduce_config_selectorIN6thrust23THRUST_200600_302600_NS5tupleIbffNS6_9null_typeES8_S8_S8_S8_S8_S8_EEEEZNS1_11reduce_implILb1ES3_NS6_11hip_rocprim26transform_input_iterator_tIS9_NS6_12zip_iteratorINS7_INS6_17counting_iteratorIiNS6_11use_defaultESG_SG_EENS6_6detail15normal_iteratorINS6_10device_ptrIfEEEES8_S8_S8_S8_S8_S8_S8_S8_EEEE15transform_tupleIifEEEPS9_S9_12reduce_tupleIifEEE10hipError_tPvRmT1_T2_T3_mT4_P12ihipStream_tbEUlT_E1_NS1_11comp_targetILNS1_3genE2ELNS1_11target_archE906ELNS1_3gpuE6ELNS1_3repE0EEENS1_30default_config_static_selectorELNS0_4arch9wavefront6targetE1EEEvSY_.has_indirect_call, 0
	.section	.AMDGPU.csdata,"",@progbits
; Kernel info:
; codeLenInByte = 29084
; TotalNumSgprs: 58
; NumVgprs: 36
; ScratchSize: 0
; MemoryBound: 0
; FloatMode: 240
; IeeeMode: 1
; LDSByteSize: 184 bytes/workgroup (compile time only)
; SGPRBlocks: 7
; VGPRBlocks: 8
; NumSGPRsForWavesPerEU: 58
; NumVGPRsForWavesPerEU: 36
; Occupancy: 7
; WaveLimiterHint : 1
; COMPUTE_PGM_RSRC2:SCRATCH_EN: 0
; COMPUTE_PGM_RSRC2:USER_SGPR: 6
; COMPUTE_PGM_RSRC2:TRAP_HANDLER: 0
; COMPUTE_PGM_RSRC2:TGID_X_EN: 1
; COMPUTE_PGM_RSRC2:TGID_Y_EN: 0
; COMPUTE_PGM_RSRC2:TGID_Z_EN: 0
; COMPUTE_PGM_RSRC2:TIDIG_COMP_CNT: 0
	.section	.text._ZN7rocprim17ROCPRIM_400000_NS6detail17trampoline_kernelINS0_14default_configENS1_22reduce_config_selectorIN6thrust23THRUST_200600_302600_NS5tupleIbffNS6_9null_typeES8_S8_S8_S8_S8_S8_EEEEZNS1_11reduce_implILb1ES3_NS6_11hip_rocprim26transform_input_iterator_tIS9_NS6_12zip_iteratorINS7_INS6_17counting_iteratorIiNS6_11use_defaultESG_SG_EENS6_6detail15normal_iteratorINS6_10device_ptrIfEEEES8_S8_S8_S8_S8_S8_S8_S8_EEEE15transform_tupleIifEEEPS9_S9_12reduce_tupleIifEEE10hipError_tPvRmT1_T2_T3_mT4_P12ihipStream_tbEUlT_E1_NS1_11comp_targetILNS1_3genE10ELNS1_11target_archE1201ELNS1_3gpuE5ELNS1_3repE0EEENS1_30default_config_static_selectorELNS0_4arch9wavefront6targetE1EEEvSY_,"axG",@progbits,_ZN7rocprim17ROCPRIM_400000_NS6detail17trampoline_kernelINS0_14default_configENS1_22reduce_config_selectorIN6thrust23THRUST_200600_302600_NS5tupleIbffNS6_9null_typeES8_S8_S8_S8_S8_S8_EEEEZNS1_11reduce_implILb1ES3_NS6_11hip_rocprim26transform_input_iterator_tIS9_NS6_12zip_iteratorINS7_INS6_17counting_iteratorIiNS6_11use_defaultESG_SG_EENS6_6detail15normal_iteratorINS6_10device_ptrIfEEEES8_S8_S8_S8_S8_S8_S8_S8_EEEE15transform_tupleIifEEEPS9_S9_12reduce_tupleIifEEE10hipError_tPvRmT1_T2_T3_mT4_P12ihipStream_tbEUlT_E1_NS1_11comp_targetILNS1_3genE10ELNS1_11target_archE1201ELNS1_3gpuE5ELNS1_3repE0EEENS1_30default_config_static_selectorELNS0_4arch9wavefront6targetE1EEEvSY_,comdat
	.protected	_ZN7rocprim17ROCPRIM_400000_NS6detail17trampoline_kernelINS0_14default_configENS1_22reduce_config_selectorIN6thrust23THRUST_200600_302600_NS5tupleIbffNS6_9null_typeES8_S8_S8_S8_S8_S8_EEEEZNS1_11reduce_implILb1ES3_NS6_11hip_rocprim26transform_input_iterator_tIS9_NS6_12zip_iteratorINS7_INS6_17counting_iteratorIiNS6_11use_defaultESG_SG_EENS6_6detail15normal_iteratorINS6_10device_ptrIfEEEES8_S8_S8_S8_S8_S8_S8_S8_EEEE15transform_tupleIifEEEPS9_S9_12reduce_tupleIifEEE10hipError_tPvRmT1_T2_T3_mT4_P12ihipStream_tbEUlT_E1_NS1_11comp_targetILNS1_3genE10ELNS1_11target_archE1201ELNS1_3gpuE5ELNS1_3repE0EEENS1_30default_config_static_selectorELNS0_4arch9wavefront6targetE1EEEvSY_ ; -- Begin function _ZN7rocprim17ROCPRIM_400000_NS6detail17trampoline_kernelINS0_14default_configENS1_22reduce_config_selectorIN6thrust23THRUST_200600_302600_NS5tupleIbffNS6_9null_typeES8_S8_S8_S8_S8_S8_EEEEZNS1_11reduce_implILb1ES3_NS6_11hip_rocprim26transform_input_iterator_tIS9_NS6_12zip_iteratorINS7_INS6_17counting_iteratorIiNS6_11use_defaultESG_SG_EENS6_6detail15normal_iteratorINS6_10device_ptrIfEEEES8_S8_S8_S8_S8_S8_S8_S8_EEEE15transform_tupleIifEEEPS9_S9_12reduce_tupleIifEEE10hipError_tPvRmT1_T2_T3_mT4_P12ihipStream_tbEUlT_E1_NS1_11comp_targetILNS1_3genE10ELNS1_11target_archE1201ELNS1_3gpuE5ELNS1_3repE0EEENS1_30default_config_static_selectorELNS0_4arch9wavefront6targetE1EEEvSY_
	.globl	_ZN7rocprim17ROCPRIM_400000_NS6detail17trampoline_kernelINS0_14default_configENS1_22reduce_config_selectorIN6thrust23THRUST_200600_302600_NS5tupleIbffNS6_9null_typeES8_S8_S8_S8_S8_S8_EEEEZNS1_11reduce_implILb1ES3_NS6_11hip_rocprim26transform_input_iterator_tIS9_NS6_12zip_iteratorINS7_INS6_17counting_iteratorIiNS6_11use_defaultESG_SG_EENS6_6detail15normal_iteratorINS6_10device_ptrIfEEEES8_S8_S8_S8_S8_S8_S8_S8_EEEE15transform_tupleIifEEEPS9_S9_12reduce_tupleIifEEE10hipError_tPvRmT1_T2_T3_mT4_P12ihipStream_tbEUlT_E1_NS1_11comp_targetILNS1_3genE10ELNS1_11target_archE1201ELNS1_3gpuE5ELNS1_3repE0EEENS1_30default_config_static_selectorELNS0_4arch9wavefront6targetE1EEEvSY_
	.p2align	8
	.type	_ZN7rocprim17ROCPRIM_400000_NS6detail17trampoline_kernelINS0_14default_configENS1_22reduce_config_selectorIN6thrust23THRUST_200600_302600_NS5tupleIbffNS6_9null_typeES8_S8_S8_S8_S8_S8_EEEEZNS1_11reduce_implILb1ES3_NS6_11hip_rocprim26transform_input_iterator_tIS9_NS6_12zip_iteratorINS7_INS6_17counting_iteratorIiNS6_11use_defaultESG_SG_EENS6_6detail15normal_iteratorINS6_10device_ptrIfEEEES8_S8_S8_S8_S8_S8_S8_S8_EEEE15transform_tupleIifEEEPS9_S9_12reduce_tupleIifEEE10hipError_tPvRmT1_T2_T3_mT4_P12ihipStream_tbEUlT_E1_NS1_11comp_targetILNS1_3genE10ELNS1_11target_archE1201ELNS1_3gpuE5ELNS1_3repE0EEENS1_30default_config_static_selectorELNS0_4arch9wavefront6targetE1EEEvSY_,@function
_ZN7rocprim17ROCPRIM_400000_NS6detail17trampoline_kernelINS0_14default_configENS1_22reduce_config_selectorIN6thrust23THRUST_200600_302600_NS5tupleIbffNS6_9null_typeES8_S8_S8_S8_S8_S8_EEEEZNS1_11reduce_implILb1ES3_NS6_11hip_rocprim26transform_input_iterator_tIS9_NS6_12zip_iteratorINS7_INS6_17counting_iteratorIiNS6_11use_defaultESG_SG_EENS6_6detail15normal_iteratorINS6_10device_ptrIfEEEES8_S8_S8_S8_S8_S8_S8_S8_EEEE15transform_tupleIifEEEPS9_S9_12reduce_tupleIifEEE10hipError_tPvRmT1_T2_T3_mT4_P12ihipStream_tbEUlT_E1_NS1_11comp_targetILNS1_3genE10ELNS1_11target_archE1201ELNS1_3gpuE5ELNS1_3repE0EEENS1_30default_config_static_selectorELNS0_4arch9wavefront6targetE1EEEvSY_: ; @_ZN7rocprim17ROCPRIM_400000_NS6detail17trampoline_kernelINS0_14default_configENS1_22reduce_config_selectorIN6thrust23THRUST_200600_302600_NS5tupleIbffNS6_9null_typeES8_S8_S8_S8_S8_S8_EEEEZNS1_11reduce_implILb1ES3_NS6_11hip_rocprim26transform_input_iterator_tIS9_NS6_12zip_iteratorINS7_INS6_17counting_iteratorIiNS6_11use_defaultESG_SG_EENS6_6detail15normal_iteratorINS6_10device_ptrIfEEEES8_S8_S8_S8_S8_S8_S8_S8_EEEE15transform_tupleIifEEEPS9_S9_12reduce_tupleIifEEE10hipError_tPvRmT1_T2_T3_mT4_P12ihipStream_tbEUlT_E1_NS1_11comp_targetILNS1_3genE10ELNS1_11target_archE1201ELNS1_3gpuE5ELNS1_3repE0EEENS1_30default_config_static_selectorELNS0_4arch9wavefront6targetE1EEEvSY_
; %bb.0:
	.section	.rodata,"a",@progbits
	.p2align	6, 0x0
	.amdhsa_kernel _ZN7rocprim17ROCPRIM_400000_NS6detail17trampoline_kernelINS0_14default_configENS1_22reduce_config_selectorIN6thrust23THRUST_200600_302600_NS5tupleIbffNS6_9null_typeES8_S8_S8_S8_S8_S8_EEEEZNS1_11reduce_implILb1ES3_NS6_11hip_rocprim26transform_input_iterator_tIS9_NS6_12zip_iteratorINS7_INS6_17counting_iteratorIiNS6_11use_defaultESG_SG_EENS6_6detail15normal_iteratorINS6_10device_ptrIfEEEES8_S8_S8_S8_S8_S8_S8_S8_EEEE15transform_tupleIifEEEPS9_S9_12reduce_tupleIifEEE10hipError_tPvRmT1_T2_T3_mT4_P12ihipStream_tbEUlT_E1_NS1_11comp_targetILNS1_3genE10ELNS1_11target_archE1201ELNS1_3gpuE5ELNS1_3repE0EEENS1_30default_config_static_selectorELNS0_4arch9wavefront6targetE1EEEvSY_
		.amdhsa_group_segment_fixed_size 0
		.amdhsa_private_segment_fixed_size 0
		.amdhsa_kernarg_size 64
		.amdhsa_user_sgpr_count 6
		.amdhsa_user_sgpr_private_segment_buffer 1
		.amdhsa_user_sgpr_dispatch_ptr 0
		.amdhsa_user_sgpr_queue_ptr 0
		.amdhsa_user_sgpr_kernarg_segment_ptr 1
		.amdhsa_user_sgpr_dispatch_id 0
		.amdhsa_user_sgpr_flat_scratch_init 0
		.amdhsa_user_sgpr_private_segment_size 0
		.amdhsa_uses_dynamic_stack 0
		.amdhsa_system_sgpr_private_segment_wavefront_offset 0
		.amdhsa_system_sgpr_workgroup_id_x 1
		.amdhsa_system_sgpr_workgroup_id_y 0
		.amdhsa_system_sgpr_workgroup_id_z 0
		.amdhsa_system_sgpr_workgroup_info 0
		.amdhsa_system_vgpr_workitem_id 0
		.amdhsa_next_free_vgpr 1
		.amdhsa_next_free_sgpr 0
		.amdhsa_reserve_vcc 0
		.amdhsa_reserve_flat_scratch 0
		.amdhsa_float_round_mode_32 0
		.amdhsa_float_round_mode_16_64 0
		.amdhsa_float_denorm_mode_32 3
		.amdhsa_float_denorm_mode_16_64 3
		.amdhsa_dx10_clamp 1
		.amdhsa_ieee_mode 1
		.amdhsa_fp16_overflow 0
		.amdhsa_exception_fp_ieee_invalid_op 0
		.amdhsa_exception_fp_denorm_src 0
		.amdhsa_exception_fp_ieee_div_zero 0
		.amdhsa_exception_fp_ieee_overflow 0
		.amdhsa_exception_fp_ieee_underflow 0
		.amdhsa_exception_fp_ieee_inexact 0
		.amdhsa_exception_int_div_zero 0
	.end_amdhsa_kernel
	.section	.text._ZN7rocprim17ROCPRIM_400000_NS6detail17trampoline_kernelINS0_14default_configENS1_22reduce_config_selectorIN6thrust23THRUST_200600_302600_NS5tupleIbffNS6_9null_typeES8_S8_S8_S8_S8_S8_EEEEZNS1_11reduce_implILb1ES3_NS6_11hip_rocprim26transform_input_iterator_tIS9_NS6_12zip_iteratorINS7_INS6_17counting_iteratorIiNS6_11use_defaultESG_SG_EENS6_6detail15normal_iteratorINS6_10device_ptrIfEEEES8_S8_S8_S8_S8_S8_S8_S8_EEEE15transform_tupleIifEEEPS9_S9_12reduce_tupleIifEEE10hipError_tPvRmT1_T2_T3_mT4_P12ihipStream_tbEUlT_E1_NS1_11comp_targetILNS1_3genE10ELNS1_11target_archE1201ELNS1_3gpuE5ELNS1_3repE0EEENS1_30default_config_static_selectorELNS0_4arch9wavefront6targetE1EEEvSY_,"axG",@progbits,_ZN7rocprim17ROCPRIM_400000_NS6detail17trampoline_kernelINS0_14default_configENS1_22reduce_config_selectorIN6thrust23THRUST_200600_302600_NS5tupleIbffNS6_9null_typeES8_S8_S8_S8_S8_S8_EEEEZNS1_11reduce_implILb1ES3_NS6_11hip_rocprim26transform_input_iterator_tIS9_NS6_12zip_iteratorINS7_INS6_17counting_iteratorIiNS6_11use_defaultESG_SG_EENS6_6detail15normal_iteratorINS6_10device_ptrIfEEEES8_S8_S8_S8_S8_S8_S8_S8_EEEE15transform_tupleIifEEEPS9_S9_12reduce_tupleIifEEE10hipError_tPvRmT1_T2_T3_mT4_P12ihipStream_tbEUlT_E1_NS1_11comp_targetILNS1_3genE10ELNS1_11target_archE1201ELNS1_3gpuE5ELNS1_3repE0EEENS1_30default_config_static_selectorELNS0_4arch9wavefront6targetE1EEEvSY_,comdat
.Lfunc_end33:
	.size	_ZN7rocprim17ROCPRIM_400000_NS6detail17trampoline_kernelINS0_14default_configENS1_22reduce_config_selectorIN6thrust23THRUST_200600_302600_NS5tupleIbffNS6_9null_typeES8_S8_S8_S8_S8_S8_EEEEZNS1_11reduce_implILb1ES3_NS6_11hip_rocprim26transform_input_iterator_tIS9_NS6_12zip_iteratorINS7_INS6_17counting_iteratorIiNS6_11use_defaultESG_SG_EENS6_6detail15normal_iteratorINS6_10device_ptrIfEEEES8_S8_S8_S8_S8_S8_S8_S8_EEEE15transform_tupleIifEEEPS9_S9_12reduce_tupleIifEEE10hipError_tPvRmT1_T2_T3_mT4_P12ihipStream_tbEUlT_E1_NS1_11comp_targetILNS1_3genE10ELNS1_11target_archE1201ELNS1_3gpuE5ELNS1_3repE0EEENS1_30default_config_static_selectorELNS0_4arch9wavefront6targetE1EEEvSY_, .Lfunc_end33-_ZN7rocprim17ROCPRIM_400000_NS6detail17trampoline_kernelINS0_14default_configENS1_22reduce_config_selectorIN6thrust23THRUST_200600_302600_NS5tupleIbffNS6_9null_typeES8_S8_S8_S8_S8_S8_EEEEZNS1_11reduce_implILb1ES3_NS6_11hip_rocprim26transform_input_iterator_tIS9_NS6_12zip_iteratorINS7_INS6_17counting_iteratorIiNS6_11use_defaultESG_SG_EENS6_6detail15normal_iteratorINS6_10device_ptrIfEEEES8_S8_S8_S8_S8_S8_S8_S8_EEEE15transform_tupleIifEEEPS9_S9_12reduce_tupleIifEEE10hipError_tPvRmT1_T2_T3_mT4_P12ihipStream_tbEUlT_E1_NS1_11comp_targetILNS1_3genE10ELNS1_11target_archE1201ELNS1_3gpuE5ELNS1_3repE0EEENS1_30default_config_static_selectorELNS0_4arch9wavefront6targetE1EEEvSY_
                                        ; -- End function
	.set _ZN7rocprim17ROCPRIM_400000_NS6detail17trampoline_kernelINS0_14default_configENS1_22reduce_config_selectorIN6thrust23THRUST_200600_302600_NS5tupleIbffNS6_9null_typeES8_S8_S8_S8_S8_S8_EEEEZNS1_11reduce_implILb1ES3_NS6_11hip_rocprim26transform_input_iterator_tIS9_NS6_12zip_iteratorINS7_INS6_17counting_iteratorIiNS6_11use_defaultESG_SG_EENS6_6detail15normal_iteratorINS6_10device_ptrIfEEEES8_S8_S8_S8_S8_S8_S8_S8_EEEE15transform_tupleIifEEEPS9_S9_12reduce_tupleIifEEE10hipError_tPvRmT1_T2_T3_mT4_P12ihipStream_tbEUlT_E1_NS1_11comp_targetILNS1_3genE10ELNS1_11target_archE1201ELNS1_3gpuE5ELNS1_3repE0EEENS1_30default_config_static_selectorELNS0_4arch9wavefront6targetE1EEEvSY_.num_vgpr, 0
	.set _ZN7rocprim17ROCPRIM_400000_NS6detail17trampoline_kernelINS0_14default_configENS1_22reduce_config_selectorIN6thrust23THRUST_200600_302600_NS5tupleIbffNS6_9null_typeES8_S8_S8_S8_S8_S8_EEEEZNS1_11reduce_implILb1ES3_NS6_11hip_rocprim26transform_input_iterator_tIS9_NS6_12zip_iteratorINS7_INS6_17counting_iteratorIiNS6_11use_defaultESG_SG_EENS6_6detail15normal_iteratorINS6_10device_ptrIfEEEES8_S8_S8_S8_S8_S8_S8_S8_EEEE15transform_tupleIifEEEPS9_S9_12reduce_tupleIifEEE10hipError_tPvRmT1_T2_T3_mT4_P12ihipStream_tbEUlT_E1_NS1_11comp_targetILNS1_3genE10ELNS1_11target_archE1201ELNS1_3gpuE5ELNS1_3repE0EEENS1_30default_config_static_selectorELNS0_4arch9wavefront6targetE1EEEvSY_.num_agpr, 0
	.set _ZN7rocprim17ROCPRIM_400000_NS6detail17trampoline_kernelINS0_14default_configENS1_22reduce_config_selectorIN6thrust23THRUST_200600_302600_NS5tupleIbffNS6_9null_typeES8_S8_S8_S8_S8_S8_EEEEZNS1_11reduce_implILb1ES3_NS6_11hip_rocprim26transform_input_iterator_tIS9_NS6_12zip_iteratorINS7_INS6_17counting_iteratorIiNS6_11use_defaultESG_SG_EENS6_6detail15normal_iteratorINS6_10device_ptrIfEEEES8_S8_S8_S8_S8_S8_S8_S8_EEEE15transform_tupleIifEEEPS9_S9_12reduce_tupleIifEEE10hipError_tPvRmT1_T2_T3_mT4_P12ihipStream_tbEUlT_E1_NS1_11comp_targetILNS1_3genE10ELNS1_11target_archE1201ELNS1_3gpuE5ELNS1_3repE0EEENS1_30default_config_static_selectorELNS0_4arch9wavefront6targetE1EEEvSY_.numbered_sgpr, 0
	.set _ZN7rocprim17ROCPRIM_400000_NS6detail17trampoline_kernelINS0_14default_configENS1_22reduce_config_selectorIN6thrust23THRUST_200600_302600_NS5tupleIbffNS6_9null_typeES8_S8_S8_S8_S8_S8_EEEEZNS1_11reduce_implILb1ES3_NS6_11hip_rocprim26transform_input_iterator_tIS9_NS6_12zip_iteratorINS7_INS6_17counting_iteratorIiNS6_11use_defaultESG_SG_EENS6_6detail15normal_iteratorINS6_10device_ptrIfEEEES8_S8_S8_S8_S8_S8_S8_S8_EEEE15transform_tupleIifEEEPS9_S9_12reduce_tupleIifEEE10hipError_tPvRmT1_T2_T3_mT4_P12ihipStream_tbEUlT_E1_NS1_11comp_targetILNS1_3genE10ELNS1_11target_archE1201ELNS1_3gpuE5ELNS1_3repE0EEENS1_30default_config_static_selectorELNS0_4arch9wavefront6targetE1EEEvSY_.num_named_barrier, 0
	.set _ZN7rocprim17ROCPRIM_400000_NS6detail17trampoline_kernelINS0_14default_configENS1_22reduce_config_selectorIN6thrust23THRUST_200600_302600_NS5tupleIbffNS6_9null_typeES8_S8_S8_S8_S8_S8_EEEEZNS1_11reduce_implILb1ES3_NS6_11hip_rocprim26transform_input_iterator_tIS9_NS6_12zip_iteratorINS7_INS6_17counting_iteratorIiNS6_11use_defaultESG_SG_EENS6_6detail15normal_iteratorINS6_10device_ptrIfEEEES8_S8_S8_S8_S8_S8_S8_S8_EEEE15transform_tupleIifEEEPS9_S9_12reduce_tupleIifEEE10hipError_tPvRmT1_T2_T3_mT4_P12ihipStream_tbEUlT_E1_NS1_11comp_targetILNS1_3genE10ELNS1_11target_archE1201ELNS1_3gpuE5ELNS1_3repE0EEENS1_30default_config_static_selectorELNS0_4arch9wavefront6targetE1EEEvSY_.private_seg_size, 0
	.set _ZN7rocprim17ROCPRIM_400000_NS6detail17trampoline_kernelINS0_14default_configENS1_22reduce_config_selectorIN6thrust23THRUST_200600_302600_NS5tupleIbffNS6_9null_typeES8_S8_S8_S8_S8_S8_EEEEZNS1_11reduce_implILb1ES3_NS6_11hip_rocprim26transform_input_iterator_tIS9_NS6_12zip_iteratorINS7_INS6_17counting_iteratorIiNS6_11use_defaultESG_SG_EENS6_6detail15normal_iteratorINS6_10device_ptrIfEEEES8_S8_S8_S8_S8_S8_S8_S8_EEEE15transform_tupleIifEEEPS9_S9_12reduce_tupleIifEEE10hipError_tPvRmT1_T2_T3_mT4_P12ihipStream_tbEUlT_E1_NS1_11comp_targetILNS1_3genE10ELNS1_11target_archE1201ELNS1_3gpuE5ELNS1_3repE0EEENS1_30default_config_static_selectorELNS0_4arch9wavefront6targetE1EEEvSY_.uses_vcc, 0
	.set _ZN7rocprim17ROCPRIM_400000_NS6detail17trampoline_kernelINS0_14default_configENS1_22reduce_config_selectorIN6thrust23THRUST_200600_302600_NS5tupleIbffNS6_9null_typeES8_S8_S8_S8_S8_S8_EEEEZNS1_11reduce_implILb1ES3_NS6_11hip_rocprim26transform_input_iterator_tIS9_NS6_12zip_iteratorINS7_INS6_17counting_iteratorIiNS6_11use_defaultESG_SG_EENS6_6detail15normal_iteratorINS6_10device_ptrIfEEEES8_S8_S8_S8_S8_S8_S8_S8_EEEE15transform_tupleIifEEEPS9_S9_12reduce_tupleIifEEE10hipError_tPvRmT1_T2_T3_mT4_P12ihipStream_tbEUlT_E1_NS1_11comp_targetILNS1_3genE10ELNS1_11target_archE1201ELNS1_3gpuE5ELNS1_3repE0EEENS1_30default_config_static_selectorELNS0_4arch9wavefront6targetE1EEEvSY_.uses_flat_scratch, 0
	.set _ZN7rocprim17ROCPRIM_400000_NS6detail17trampoline_kernelINS0_14default_configENS1_22reduce_config_selectorIN6thrust23THRUST_200600_302600_NS5tupleIbffNS6_9null_typeES8_S8_S8_S8_S8_S8_EEEEZNS1_11reduce_implILb1ES3_NS6_11hip_rocprim26transform_input_iterator_tIS9_NS6_12zip_iteratorINS7_INS6_17counting_iteratorIiNS6_11use_defaultESG_SG_EENS6_6detail15normal_iteratorINS6_10device_ptrIfEEEES8_S8_S8_S8_S8_S8_S8_S8_EEEE15transform_tupleIifEEEPS9_S9_12reduce_tupleIifEEE10hipError_tPvRmT1_T2_T3_mT4_P12ihipStream_tbEUlT_E1_NS1_11comp_targetILNS1_3genE10ELNS1_11target_archE1201ELNS1_3gpuE5ELNS1_3repE0EEENS1_30default_config_static_selectorELNS0_4arch9wavefront6targetE1EEEvSY_.has_dyn_sized_stack, 0
	.set _ZN7rocprim17ROCPRIM_400000_NS6detail17trampoline_kernelINS0_14default_configENS1_22reduce_config_selectorIN6thrust23THRUST_200600_302600_NS5tupleIbffNS6_9null_typeES8_S8_S8_S8_S8_S8_EEEEZNS1_11reduce_implILb1ES3_NS6_11hip_rocprim26transform_input_iterator_tIS9_NS6_12zip_iteratorINS7_INS6_17counting_iteratorIiNS6_11use_defaultESG_SG_EENS6_6detail15normal_iteratorINS6_10device_ptrIfEEEES8_S8_S8_S8_S8_S8_S8_S8_EEEE15transform_tupleIifEEEPS9_S9_12reduce_tupleIifEEE10hipError_tPvRmT1_T2_T3_mT4_P12ihipStream_tbEUlT_E1_NS1_11comp_targetILNS1_3genE10ELNS1_11target_archE1201ELNS1_3gpuE5ELNS1_3repE0EEENS1_30default_config_static_selectorELNS0_4arch9wavefront6targetE1EEEvSY_.has_recursion, 0
	.set _ZN7rocprim17ROCPRIM_400000_NS6detail17trampoline_kernelINS0_14default_configENS1_22reduce_config_selectorIN6thrust23THRUST_200600_302600_NS5tupleIbffNS6_9null_typeES8_S8_S8_S8_S8_S8_EEEEZNS1_11reduce_implILb1ES3_NS6_11hip_rocprim26transform_input_iterator_tIS9_NS6_12zip_iteratorINS7_INS6_17counting_iteratorIiNS6_11use_defaultESG_SG_EENS6_6detail15normal_iteratorINS6_10device_ptrIfEEEES8_S8_S8_S8_S8_S8_S8_S8_EEEE15transform_tupleIifEEEPS9_S9_12reduce_tupleIifEEE10hipError_tPvRmT1_T2_T3_mT4_P12ihipStream_tbEUlT_E1_NS1_11comp_targetILNS1_3genE10ELNS1_11target_archE1201ELNS1_3gpuE5ELNS1_3repE0EEENS1_30default_config_static_selectorELNS0_4arch9wavefront6targetE1EEEvSY_.has_indirect_call, 0
	.section	.AMDGPU.csdata,"",@progbits
; Kernel info:
; codeLenInByte = 0
; TotalNumSgprs: 4
; NumVgprs: 0
; ScratchSize: 0
; MemoryBound: 0
; FloatMode: 240
; IeeeMode: 1
; LDSByteSize: 0 bytes/workgroup (compile time only)
; SGPRBlocks: 0
; VGPRBlocks: 0
; NumSGPRsForWavesPerEU: 4
; NumVGPRsForWavesPerEU: 1
; Occupancy: 10
; WaveLimiterHint : 0
; COMPUTE_PGM_RSRC2:SCRATCH_EN: 0
; COMPUTE_PGM_RSRC2:USER_SGPR: 6
; COMPUTE_PGM_RSRC2:TRAP_HANDLER: 0
; COMPUTE_PGM_RSRC2:TGID_X_EN: 1
; COMPUTE_PGM_RSRC2:TGID_Y_EN: 0
; COMPUTE_PGM_RSRC2:TGID_Z_EN: 0
; COMPUTE_PGM_RSRC2:TIDIG_COMP_CNT: 0
	.section	.text._ZN7rocprim17ROCPRIM_400000_NS6detail17trampoline_kernelINS0_14default_configENS1_22reduce_config_selectorIN6thrust23THRUST_200600_302600_NS5tupleIbffNS6_9null_typeES8_S8_S8_S8_S8_S8_EEEEZNS1_11reduce_implILb1ES3_NS6_11hip_rocprim26transform_input_iterator_tIS9_NS6_12zip_iteratorINS7_INS6_17counting_iteratorIiNS6_11use_defaultESG_SG_EENS6_6detail15normal_iteratorINS6_10device_ptrIfEEEES8_S8_S8_S8_S8_S8_S8_S8_EEEE15transform_tupleIifEEEPS9_S9_12reduce_tupleIifEEE10hipError_tPvRmT1_T2_T3_mT4_P12ihipStream_tbEUlT_E1_NS1_11comp_targetILNS1_3genE10ELNS1_11target_archE1200ELNS1_3gpuE4ELNS1_3repE0EEENS1_30default_config_static_selectorELNS0_4arch9wavefront6targetE1EEEvSY_,"axG",@progbits,_ZN7rocprim17ROCPRIM_400000_NS6detail17trampoline_kernelINS0_14default_configENS1_22reduce_config_selectorIN6thrust23THRUST_200600_302600_NS5tupleIbffNS6_9null_typeES8_S8_S8_S8_S8_S8_EEEEZNS1_11reduce_implILb1ES3_NS6_11hip_rocprim26transform_input_iterator_tIS9_NS6_12zip_iteratorINS7_INS6_17counting_iteratorIiNS6_11use_defaultESG_SG_EENS6_6detail15normal_iteratorINS6_10device_ptrIfEEEES8_S8_S8_S8_S8_S8_S8_S8_EEEE15transform_tupleIifEEEPS9_S9_12reduce_tupleIifEEE10hipError_tPvRmT1_T2_T3_mT4_P12ihipStream_tbEUlT_E1_NS1_11comp_targetILNS1_3genE10ELNS1_11target_archE1200ELNS1_3gpuE4ELNS1_3repE0EEENS1_30default_config_static_selectorELNS0_4arch9wavefront6targetE1EEEvSY_,comdat
	.protected	_ZN7rocprim17ROCPRIM_400000_NS6detail17trampoline_kernelINS0_14default_configENS1_22reduce_config_selectorIN6thrust23THRUST_200600_302600_NS5tupleIbffNS6_9null_typeES8_S8_S8_S8_S8_S8_EEEEZNS1_11reduce_implILb1ES3_NS6_11hip_rocprim26transform_input_iterator_tIS9_NS6_12zip_iteratorINS7_INS6_17counting_iteratorIiNS6_11use_defaultESG_SG_EENS6_6detail15normal_iteratorINS6_10device_ptrIfEEEES8_S8_S8_S8_S8_S8_S8_S8_EEEE15transform_tupleIifEEEPS9_S9_12reduce_tupleIifEEE10hipError_tPvRmT1_T2_T3_mT4_P12ihipStream_tbEUlT_E1_NS1_11comp_targetILNS1_3genE10ELNS1_11target_archE1200ELNS1_3gpuE4ELNS1_3repE0EEENS1_30default_config_static_selectorELNS0_4arch9wavefront6targetE1EEEvSY_ ; -- Begin function _ZN7rocprim17ROCPRIM_400000_NS6detail17trampoline_kernelINS0_14default_configENS1_22reduce_config_selectorIN6thrust23THRUST_200600_302600_NS5tupleIbffNS6_9null_typeES8_S8_S8_S8_S8_S8_EEEEZNS1_11reduce_implILb1ES3_NS6_11hip_rocprim26transform_input_iterator_tIS9_NS6_12zip_iteratorINS7_INS6_17counting_iteratorIiNS6_11use_defaultESG_SG_EENS6_6detail15normal_iteratorINS6_10device_ptrIfEEEES8_S8_S8_S8_S8_S8_S8_S8_EEEE15transform_tupleIifEEEPS9_S9_12reduce_tupleIifEEE10hipError_tPvRmT1_T2_T3_mT4_P12ihipStream_tbEUlT_E1_NS1_11comp_targetILNS1_3genE10ELNS1_11target_archE1200ELNS1_3gpuE4ELNS1_3repE0EEENS1_30default_config_static_selectorELNS0_4arch9wavefront6targetE1EEEvSY_
	.globl	_ZN7rocprim17ROCPRIM_400000_NS6detail17trampoline_kernelINS0_14default_configENS1_22reduce_config_selectorIN6thrust23THRUST_200600_302600_NS5tupleIbffNS6_9null_typeES8_S8_S8_S8_S8_S8_EEEEZNS1_11reduce_implILb1ES3_NS6_11hip_rocprim26transform_input_iterator_tIS9_NS6_12zip_iteratorINS7_INS6_17counting_iteratorIiNS6_11use_defaultESG_SG_EENS6_6detail15normal_iteratorINS6_10device_ptrIfEEEES8_S8_S8_S8_S8_S8_S8_S8_EEEE15transform_tupleIifEEEPS9_S9_12reduce_tupleIifEEE10hipError_tPvRmT1_T2_T3_mT4_P12ihipStream_tbEUlT_E1_NS1_11comp_targetILNS1_3genE10ELNS1_11target_archE1200ELNS1_3gpuE4ELNS1_3repE0EEENS1_30default_config_static_selectorELNS0_4arch9wavefront6targetE1EEEvSY_
	.p2align	8
	.type	_ZN7rocprim17ROCPRIM_400000_NS6detail17trampoline_kernelINS0_14default_configENS1_22reduce_config_selectorIN6thrust23THRUST_200600_302600_NS5tupleIbffNS6_9null_typeES8_S8_S8_S8_S8_S8_EEEEZNS1_11reduce_implILb1ES3_NS6_11hip_rocprim26transform_input_iterator_tIS9_NS6_12zip_iteratorINS7_INS6_17counting_iteratorIiNS6_11use_defaultESG_SG_EENS6_6detail15normal_iteratorINS6_10device_ptrIfEEEES8_S8_S8_S8_S8_S8_S8_S8_EEEE15transform_tupleIifEEEPS9_S9_12reduce_tupleIifEEE10hipError_tPvRmT1_T2_T3_mT4_P12ihipStream_tbEUlT_E1_NS1_11comp_targetILNS1_3genE10ELNS1_11target_archE1200ELNS1_3gpuE4ELNS1_3repE0EEENS1_30default_config_static_selectorELNS0_4arch9wavefront6targetE1EEEvSY_,@function
_ZN7rocprim17ROCPRIM_400000_NS6detail17trampoline_kernelINS0_14default_configENS1_22reduce_config_selectorIN6thrust23THRUST_200600_302600_NS5tupleIbffNS6_9null_typeES8_S8_S8_S8_S8_S8_EEEEZNS1_11reduce_implILb1ES3_NS6_11hip_rocprim26transform_input_iterator_tIS9_NS6_12zip_iteratorINS7_INS6_17counting_iteratorIiNS6_11use_defaultESG_SG_EENS6_6detail15normal_iteratorINS6_10device_ptrIfEEEES8_S8_S8_S8_S8_S8_S8_S8_EEEE15transform_tupleIifEEEPS9_S9_12reduce_tupleIifEEE10hipError_tPvRmT1_T2_T3_mT4_P12ihipStream_tbEUlT_E1_NS1_11comp_targetILNS1_3genE10ELNS1_11target_archE1200ELNS1_3gpuE4ELNS1_3repE0EEENS1_30default_config_static_selectorELNS0_4arch9wavefront6targetE1EEEvSY_: ; @_ZN7rocprim17ROCPRIM_400000_NS6detail17trampoline_kernelINS0_14default_configENS1_22reduce_config_selectorIN6thrust23THRUST_200600_302600_NS5tupleIbffNS6_9null_typeES8_S8_S8_S8_S8_S8_EEEEZNS1_11reduce_implILb1ES3_NS6_11hip_rocprim26transform_input_iterator_tIS9_NS6_12zip_iteratorINS7_INS6_17counting_iteratorIiNS6_11use_defaultESG_SG_EENS6_6detail15normal_iteratorINS6_10device_ptrIfEEEES8_S8_S8_S8_S8_S8_S8_S8_EEEE15transform_tupleIifEEEPS9_S9_12reduce_tupleIifEEE10hipError_tPvRmT1_T2_T3_mT4_P12ihipStream_tbEUlT_E1_NS1_11comp_targetILNS1_3genE10ELNS1_11target_archE1200ELNS1_3gpuE4ELNS1_3repE0EEENS1_30default_config_static_selectorELNS0_4arch9wavefront6targetE1EEEvSY_
; %bb.0:
	.section	.rodata,"a",@progbits
	.p2align	6, 0x0
	.amdhsa_kernel _ZN7rocprim17ROCPRIM_400000_NS6detail17trampoline_kernelINS0_14default_configENS1_22reduce_config_selectorIN6thrust23THRUST_200600_302600_NS5tupleIbffNS6_9null_typeES8_S8_S8_S8_S8_S8_EEEEZNS1_11reduce_implILb1ES3_NS6_11hip_rocprim26transform_input_iterator_tIS9_NS6_12zip_iteratorINS7_INS6_17counting_iteratorIiNS6_11use_defaultESG_SG_EENS6_6detail15normal_iteratorINS6_10device_ptrIfEEEES8_S8_S8_S8_S8_S8_S8_S8_EEEE15transform_tupleIifEEEPS9_S9_12reduce_tupleIifEEE10hipError_tPvRmT1_T2_T3_mT4_P12ihipStream_tbEUlT_E1_NS1_11comp_targetILNS1_3genE10ELNS1_11target_archE1200ELNS1_3gpuE4ELNS1_3repE0EEENS1_30default_config_static_selectorELNS0_4arch9wavefront6targetE1EEEvSY_
		.amdhsa_group_segment_fixed_size 0
		.amdhsa_private_segment_fixed_size 0
		.amdhsa_kernarg_size 64
		.amdhsa_user_sgpr_count 6
		.amdhsa_user_sgpr_private_segment_buffer 1
		.amdhsa_user_sgpr_dispatch_ptr 0
		.amdhsa_user_sgpr_queue_ptr 0
		.amdhsa_user_sgpr_kernarg_segment_ptr 1
		.amdhsa_user_sgpr_dispatch_id 0
		.amdhsa_user_sgpr_flat_scratch_init 0
		.amdhsa_user_sgpr_private_segment_size 0
		.amdhsa_uses_dynamic_stack 0
		.amdhsa_system_sgpr_private_segment_wavefront_offset 0
		.amdhsa_system_sgpr_workgroup_id_x 1
		.amdhsa_system_sgpr_workgroup_id_y 0
		.amdhsa_system_sgpr_workgroup_id_z 0
		.amdhsa_system_sgpr_workgroup_info 0
		.amdhsa_system_vgpr_workitem_id 0
		.amdhsa_next_free_vgpr 1
		.amdhsa_next_free_sgpr 0
		.amdhsa_reserve_vcc 0
		.amdhsa_reserve_flat_scratch 0
		.amdhsa_float_round_mode_32 0
		.amdhsa_float_round_mode_16_64 0
		.amdhsa_float_denorm_mode_32 3
		.amdhsa_float_denorm_mode_16_64 3
		.amdhsa_dx10_clamp 1
		.amdhsa_ieee_mode 1
		.amdhsa_fp16_overflow 0
		.amdhsa_exception_fp_ieee_invalid_op 0
		.amdhsa_exception_fp_denorm_src 0
		.amdhsa_exception_fp_ieee_div_zero 0
		.amdhsa_exception_fp_ieee_overflow 0
		.amdhsa_exception_fp_ieee_underflow 0
		.amdhsa_exception_fp_ieee_inexact 0
		.amdhsa_exception_int_div_zero 0
	.end_amdhsa_kernel
	.section	.text._ZN7rocprim17ROCPRIM_400000_NS6detail17trampoline_kernelINS0_14default_configENS1_22reduce_config_selectorIN6thrust23THRUST_200600_302600_NS5tupleIbffNS6_9null_typeES8_S8_S8_S8_S8_S8_EEEEZNS1_11reduce_implILb1ES3_NS6_11hip_rocprim26transform_input_iterator_tIS9_NS6_12zip_iteratorINS7_INS6_17counting_iteratorIiNS6_11use_defaultESG_SG_EENS6_6detail15normal_iteratorINS6_10device_ptrIfEEEES8_S8_S8_S8_S8_S8_S8_S8_EEEE15transform_tupleIifEEEPS9_S9_12reduce_tupleIifEEE10hipError_tPvRmT1_T2_T3_mT4_P12ihipStream_tbEUlT_E1_NS1_11comp_targetILNS1_3genE10ELNS1_11target_archE1200ELNS1_3gpuE4ELNS1_3repE0EEENS1_30default_config_static_selectorELNS0_4arch9wavefront6targetE1EEEvSY_,"axG",@progbits,_ZN7rocprim17ROCPRIM_400000_NS6detail17trampoline_kernelINS0_14default_configENS1_22reduce_config_selectorIN6thrust23THRUST_200600_302600_NS5tupleIbffNS6_9null_typeES8_S8_S8_S8_S8_S8_EEEEZNS1_11reduce_implILb1ES3_NS6_11hip_rocprim26transform_input_iterator_tIS9_NS6_12zip_iteratorINS7_INS6_17counting_iteratorIiNS6_11use_defaultESG_SG_EENS6_6detail15normal_iteratorINS6_10device_ptrIfEEEES8_S8_S8_S8_S8_S8_S8_S8_EEEE15transform_tupleIifEEEPS9_S9_12reduce_tupleIifEEE10hipError_tPvRmT1_T2_T3_mT4_P12ihipStream_tbEUlT_E1_NS1_11comp_targetILNS1_3genE10ELNS1_11target_archE1200ELNS1_3gpuE4ELNS1_3repE0EEENS1_30default_config_static_selectorELNS0_4arch9wavefront6targetE1EEEvSY_,comdat
.Lfunc_end34:
	.size	_ZN7rocprim17ROCPRIM_400000_NS6detail17trampoline_kernelINS0_14default_configENS1_22reduce_config_selectorIN6thrust23THRUST_200600_302600_NS5tupleIbffNS6_9null_typeES8_S8_S8_S8_S8_S8_EEEEZNS1_11reduce_implILb1ES3_NS6_11hip_rocprim26transform_input_iterator_tIS9_NS6_12zip_iteratorINS7_INS6_17counting_iteratorIiNS6_11use_defaultESG_SG_EENS6_6detail15normal_iteratorINS6_10device_ptrIfEEEES8_S8_S8_S8_S8_S8_S8_S8_EEEE15transform_tupleIifEEEPS9_S9_12reduce_tupleIifEEE10hipError_tPvRmT1_T2_T3_mT4_P12ihipStream_tbEUlT_E1_NS1_11comp_targetILNS1_3genE10ELNS1_11target_archE1200ELNS1_3gpuE4ELNS1_3repE0EEENS1_30default_config_static_selectorELNS0_4arch9wavefront6targetE1EEEvSY_, .Lfunc_end34-_ZN7rocprim17ROCPRIM_400000_NS6detail17trampoline_kernelINS0_14default_configENS1_22reduce_config_selectorIN6thrust23THRUST_200600_302600_NS5tupleIbffNS6_9null_typeES8_S8_S8_S8_S8_S8_EEEEZNS1_11reduce_implILb1ES3_NS6_11hip_rocprim26transform_input_iterator_tIS9_NS6_12zip_iteratorINS7_INS6_17counting_iteratorIiNS6_11use_defaultESG_SG_EENS6_6detail15normal_iteratorINS6_10device_ptrIfEEEES8_S8_S8_S8_S8_S8_S8_S8_EEEE15transform_tupleIifEEEPS9_S9_12reduce_tupleIifEEE10hipError_tPvRmT1_T2_T3_mT4_P12ihipStream_tbEUlT_E1_NS1_11comp_targetILNS1_3genE10ELNS1_11target_archE1200ELNS1_3gpuE4ELNS1_3repE0EEENS1_30default_config_static_selectorELNS0_4arch9wavefront6targetE1EEEvSY_
                                        ; -- End function
	.set _ZN7rocprim17ROCPRIM_400000_NS6detail17trampoline_kernelINS0_14default_configENS1_22reduce_config_selectorIN6thrust23THRUST_200600_302600_NS5tupleIbffNS6_9null_typeES8_S8_S8_S8_S8_S8_EEEEZNS1_11reduce_implILb1ES3_NS6_11hip_rocprim26transform_input_iterator_tIS9_NS6_12zip_iteratorINS7_INS6_17counting_iteratorIiNS6_11use_defaultESG_SG_EENS6_6detail15normal_iteratorINS6_10device_ptrIfEEEES8_S8_S8_S8_S8_S8_S8_S8_EEEE15transform_tupleIifEEEPS9_S9_12reduce_tupleIifEEE10hipError_tPvRmT1_T2_T3_mT4_P12ihipStream_tbEUlT_E1_NS1_11comp_targetILNS1_3genE10ELNS1_11target_archE1200ELNS1_3gpuE4ELNS1_3repE0EEENS1_30default_config_static_selectorELNS0_4arch9wavefront6targetE1EEEvSY_.num_vgpr, 0
	.set _ZN7rocprim17ROCPRIM_400000_NS6detail17trampoline_kernelINS0_14default_configENS1_22reduce_config_selectorIN6thrust23THRUST_200600_302600_NS5tupleIbffNS6_9null_typeES8_S8_S8_S8_S8_S8_EEEEZNS1_11reduce_implILb1ES3_NS6_11hip_rocprim26transform_input_iterator_tIS9_NS6_12zip_iteratorINS7_INS6_17counting_iteratorIiNS6_11use_defaultESG_SG_EENS6_6detail15normal_iteratorINS6_10device_ptrIfEEEES8_S8_S8_S8_S8_S8_S8_S8_EEEE15transform_tupleIifEEEPS9_S9_12reduce_tupleIifEEE10hipError_tPvRmT1_T2_T3_mT4_P12ihipStream_tbEUlT_E1_NS1_11comp_targetILNS1_3genE10ELNS1_11target_archE1200ELNS1_3gpuE4ELNS1_3repE0EEENS1_30default_config_static_selectorELNS0_4arch9wavefront6targetE1EEEvSY_.num_agpr, 0
	.set _ZN7rocprim17ROCPRIM_400000_NS6detail17trampoline_kernelINS0_14default_configENS1_22reduce_config_selectorIN6thrust23THRUST_200600_302600_NS5tupleIbffNS6_9null_typeES8_S8_S8_S8_S8_S8_EEEEZNS1_11reduce_implILb1ES3_NS6_11hip_rocprim26transform_input_iterator_tIS9_NS6_12zip_iteratorINS7_INS6_17counting_iteratorIiNS6_11use_defaultESG_SG_EENS6_6detail15normal_iteratorINS6_10device_ptrIfEEEES8_S8_S8_S8_S8_S8_S8_S8_EEEE15transform_tupleIifEEEPS9_S9_12reduce_tupleIifEEE10hipError_tPvRmT1_T2_T3_mT4_P12ihipStream_tbEUlT_E1_NS1_11comp_targetILNS1_3genE10ELNS1_11target_archE1200ELNS1_3gpuE4ELNS1_3repE0EEENS1_30default_config_static_selectorELNS0_4arch9wavefront6targetE1EEEvSY_.numbered_sgpr, 0
	.set _ZN7rocprim17ROCPRIM_400000_NS6detail17trampoline_kernelINS0_14default_configENS1_22reduce_config_selectorIN6thrust23THRUST_200600_302600_NS5tupleIbffNS6_9null_typeES8_S8_S8_S8_S8_S8_EEEEZNS1_11reduce_implILb1ES3_NS6_11hip_rocprim26transform_input_iterator_tIS9_NS6_12zip_iteratorINS7_INS6_17counting_iteratorIiNS6_11use_defaultESG_SG_EENS6_6detail15normal_iteratorINS6_10device_ptrIfEEEES8_S8_S8_S8_S8_S8_S8_S8_EEEE15transform_tupleIifEEEPS9_S9_12reduce_tupleIifEEE10hipError_tPvRmT1_T2_T3_mT4_P12ihipStream_tbEUlT_E1_NS1_11comp_targetILNS1_3genE10ELNS1_11target_archE1200ELNS1_3gpuE4ELNS1_3repE0EEENS1_30default_config_static_selectorELNS0_4arch9wavefront6targetE1EEEvSY_.num_named_barrier, 0
	.set _ZN7rocprim17ROCPRIM_400000_NS6detail17trampoline_kernelINS0_14default_configENS1_22reduce_config_selectorIN6thrust23THRUST_200600_302600_NS5tupleIbffNS6_9null_typeES8_S8_S8_S8_S8_S8_EEEEZNS1_11reduce_implILb1ES3_NS6_11hip_rocprim26transform_input_iterator_tIS9_NS6_12zip_iteratorINS7_INS6_17counting_iteratorIiNS6_11use_defaultESG_SG_EENS6_6detail15normal_iteratorINS6_10device_ptrIfEEEES8_S8_S8_S8_S8_S8_S8_S8_EEEE15transform_tupleIifEEEPS9_S9_12reduce_tupleIifEEE10hipError_tPvRmT1_T2_T3_mT4_P12ihipStream_tbEUlT_E1_NS1_11comp_targetILNS1_3genE10ELNS1_11target_archE1200ELNS1_3gpuE4ELNS1_3repE0EEENS1_30default_config_static_selectorELNS0_4arch9wavefront6targetE1EEEvSY_.private_seg_size, 0
	.set _ZN7rocprim17ROCPRIM_400000_NS6detail17trampoline_kernelINS0_14default_configENS1_22reduce_config_selectorIN6thrust23THRUST_200600_302600_NS5tupleIbffNS6_9null_typeES8_S8_S8_S8_S8_S8_EEEEZNS1_11reduce_implILb1ES3_NS6_11hip_rocprim26transform_input_iterator_tIS9_NS6_12zip_iteratorINS7_INS6_17counting_iteratorIiNS6_11use_defaultESG_SG_EENS6_6detail15normal_iteratorINS6_10device_ptrIfEEEES8_S8_S8_S8_S8_S8_S8_S8_EEEE15transform_tupleIifEEEPS9_S9_12reduce_tupleIifEEE10hipError_tPvRmT1_T2_T3_mT4_P12ihipStream_tbEUlT_E1_NS1_11comp_targetILNS1_3genE10ELNS1_11target_archE1200ELNS1_3gpuE4ELNS1_3repE0EEENS1_30default_config_static_selectorELNS0_4arch9wavefront6targetE1EEEvSY_.uses_vcc, 0
	.set _ZN7rocprim17ROCPRIM_400000_NS6detail17trampoline_kernelINS0_14default_configENS1_22reduce_config_selectorIN6thrust23THRUST_200600_302600_NS5tupleIbffNS6_9null_typeES8_S8_S8_S8_S8_S8_EEEEZNS1_11reduce_implILb1ES3_NS6_11hip_rocprim26transform_input_iterator_tIS9_NS6_12zip_iteratorINS7_INS6_17counting_iteratorIiNS6_11use_defaultESG_SG_EENS6_6detail15normal_iteratorINS6_10device_ptrIfEEEES8_S8_S8_S8_S8_S8_S8_S8_EEEE15transform_tupleIifEEEPS9_S9_12reduce_tupleIifEEE10hipError_tPvRmT1_T2_T3_mT4_P12ihipStream_tbEUlT_E1_NS1_11comp_targetILNS1_3genE10ELNS1_11target_archE1200ELNS1_3gpuE4ELNS1_3repE0EEENS1_30default_config_static_selectorELNS0_4arch9wavefront6targetE1EEEvSY_.uses_flat_scratch, 0
	.set _ZN7rocprim17ROCPRIM_400000_NS6detail17trampoline_kernelINS0_14default_configENS1_22reduce_config_selectorIN6thrust23THRUST_200600_302600_NS5tupleIbffNS6_9null_typeES8_S8_S8_S8_S8_S8_EEEEZNS1_11reduce_implILb1ES3_NS6_11hip_rocprim26transform_input_iterator_tIS9_NS6_12zip_iteratorINS7_INS6_17counting_iteratorIiNS6_11use_defaultESG_SG_EENS6_6detail15normal_iteratorINS6_10device_ptrIfEEEES8_S8_S8_S8_S8_S8_S8_S8_EEEE15transform_tupleIifEEEPS9_S9_12reduce_tupleIifEEE10hipError_tPvRmT1_T2_T3_mT4_P12ihipStream_tbEUlT_E1_NS1_11comp_targetILNS1_3genE10ELNS1_11target_archE1200ELNS1_3gpuE4ELNS1_3repE0EEENS1_30default_config_static_selectorELNS0_4arch9wavefront6targetE1EEEvSY_.has_dyn_sized_stack, 0
	.set _ZN7rocprim17ROCPRIM_400000_NS6detail17trampoline_kernelINS0_14default_configENS1_22reduce_config_selectorIN6thrust23THRUST_200600_302600_NS5tupleIbffNS6_9null_typeES8_S8_S8_S8_S8_S8_EEEEZNS1_11reduce_implILb1ES3_NS6_11hip_rocprim26transform_input_iterator_tIS9_NS6_12zip_iteratorINS7_INS6_17counting_iteratorIiNS6_11use_defaultESG_SG_EENS6_6detail15normal_iteratorINS6_10device_ptrIfEEEES8_S8_S8_S8_S8_S8_S8_S8_EEEE15transform_tupleIifEEEPS9_S9_12reduce_tupleIifEEE10hipError_tPvRmT1_T2_T3_mT4_P12ihipStream_tbEUlT_E1_NS1_11comp_targetILNS1_3genE10ELNS1_11target_archE1200ELNS1_3gpuE4ELNS1_3repE0EEENS1_30default_config_static_selectorELNS0_4arch9wavefront6targetE1EEEvSY_.has_recursion, 0
	.set _ZN7rocprim17ROCPRIM_400000_NS6detail17trampoline_kernelINS0_14default_configENS1_22reduce_config_selectorIN6thrust23THRUST_200600_302600_NS5tupleIbffNS6_9null_typeES8_S8_S8_S8_S8_S8_EEEEZNS1_11reduce_implILb1ES3_NS6_11hip_rocprim26transform_input_iterator_tIS9_NS6_12zip_iteratorINS7_INS6_17counting_iteratorIiNS6_11use_defaultESG_SG_EENS6_6detail15normal_iteratorINS6_10device_ptrIfEEEES8_S8_S8_S8_S8_S8_S8_S8_EEEE15transform_tupleIifEEEPS9_S9_12reduce_tupleIifEEE10hipError_tPvRmT1_T2_T3_mT4_P12ihipStream_tbEUlT_E1_NS1_11comp_targetILNS1_3genE10ELNS1_11target_archE1200ELNS1_3gpuE4ELNS1_3repE0EEENS1_30default_config_static_selectorELNS0_4arch9wavefront6targetE1EEEvSY_.has_indirect_call, 0
	.section	.AMDGPU.csdata,"",@progbits
; Kernel info:
; codeLenInByte = 0
; TotalNumSgprs: 4
; NumVgprs: 0
; ScratchSize: 0
; MemoryBound: 0
; FloatMode: 240
; IeeeMode: 1
; LDSByteSize: 0 bytes/workgroup (compile time only)
; SGPRBlocks: 0
; VGPRBlocks: 0
; NumSGPRsForWavesPerEU: 4
; NumVGPRsForWavesPerEU: 1
; Occupancy: 10
; WaveLimiterHint : 0
; COMPUTE_PGM_RSRC2:SCRATCH_EN: 0
; COMPUTE_PGM_RSRC2:USER_SGPR: 6
; COMPUTE_PGM_RSRC2:TRAP_HANDLER: 0
; COMPUTE_PGM_RSRC2:TGID_X_EN: 1
; COMPUTE_PGM_RSRC2:TGID_Y_EN: 0
; COMPUTE_PGM_RSRC2:TGID_Z_EN: 0
; COMPUTE_PGM_RSRC2:TIDIG_COMP_CNT: 0
	.section	.text._ZN7rocprim17ROCPRIM_400000_NS6detail17trampoline_kernelINS0_14default_configENS1_22reduce_config_selectorIN6thrust23THRUST_200600_302600_NS5tupleIbffNS6_9null_typeES8_S8_S8_S8_S8_S8_EEEEZNS1_11reduce_implILb1ES3_NS6_11hip_rocprim26transform_input_iterator_tIS9_NS6_12zip_iteratorINS7_INS6_17counting_iteratorIiNS6_11use_defaultESG_SG_EENS6_6detail15normal_iteratorINS6_10device_ptrIfEEEES8_S8_S8_S8_S8_S8_S8_S8_EEEE15transform_tupleIifEEEPS9_S9_12reduce_tupleIifEEE10hipError_tPvRmT1_T2_T3_mT4_P12ihipStream_tbEUlT_E1_NS1_11comp_targetILNS1_3genE9ELNS1_11target_archE1100ELNS1_3gpuE3ELNS1_3repE0EEENS1_30default_config_static_selectorELNS0_4arch9wavefront6targetE1EEEvSY_,"axG",@progbits,_ZN7rocprim17ROCPRIM_400000_NS6detail17trampoline_kernelINS0_14default_configENS1_22reduce_config_selectorIN6thrust23THRUST_200600_302600_NS5tupleIbffNS6_9null_typeES8_S8_S8_S8_S8_S8_EEEEZNS1_11reduce_implILb1ES3_NS6_11hip_rocprim26transform_input_iterator_tIS9_NS6_12zip_iteratorINS7_INS6_17counting_iteratorIiNS6_11use_defaultESG_SG_EENS6_6detail15normal_iteratorINS6_10device_ptrIfEEEES8_S8_S8_S8_S8_S8_S8_S8_EEEE15transform_tupleIifEEEPS9_S9_12reduce_tupleIifEEE10hipError_tPvRmT1_T2_T3_mT4_P12ihipStream_tbEUlT_E1_NS1_11comp_targetILNS1_3genE9ELNS1_11target_archE1100ELNS1_3gpuE3ELNS1_3repE0EEENS1_30default_config_static_selectorELNS0_4arch9wavefront6targetE1EEEvSY_,comdat
	.protected	_ZN7rocprim17ROCPRIM_400000_NS6detail17trampoline_kernelINS0_14default_configENS1_22reduce_config_selectorIN6thrust23THRUST_200600_302600_NS5tupleIbffNS6_9null_typeES8_S8_S8_S8_S8_S8_EEEEZNS1_11reduce_implILb1ES3_NS6_11hip_rocprim26transform_input_iterator_tIS9_NS6_12zip_iteratorINS7_INS6_17counting_iteratorIiNS6_11use_defaultESG_SG_EENS6_6detail15normal_iteratorINS6_10device_ptrIfEEEES8_S8_S8_S8_S8_S8_S8_S8_EEEE15transform_tupleIifEEEPS9_S9_12reduce_tupleIifEEE10hipError_tPvRmT1_T2_T3_mT4_P12ihipStream_tbEUlT_E1_NS1_11comp_targetILNS1_3genE9ELNS1_11target_archE1100ELNS1_3gpuE3ELNS1_3repE0EEENS1_30default_config_static_selectorELNS0_4arch9wavefront6targetE1EEEvSY_ ; -- Begin function _ZN7rocprim17ROCPRIM_400000_NS6detail17trampoline_kernelINS0_14default_configENS1_22reduce_config_selectorIN6thrust23THRUST_200600_302600_NS5tupleIbffNS6_9null_typeES8_S8_S8_S8_S8_S8_EEEEZNS1_11reduce_implILb1ES3_NS6_11hip_rocprim26transform_input_iterator_tIS9_NS6_12zip_iteratorINS7_INS6_17counting_iteratorIiNS6_11use_defaultESG_SG_EENS6_6detail15normal_iteratorINS6_10device_ptrIfEEEES8_S8_S8_S8_S8_S8_S8_S8_EEEE15transform_tupleIifEEEPS9_S9_12reduce_tupleIifEEE10hipError_tPvRmT1_T2_T3_mT4_P12ihipStream_tbEUlT_E1_NS1_11comp_targetILNS1_3genE9ELNS1_11target_archE1100ELNS1_3gpuE3ELNS1_3repE0EEENS1_30default_config_static_selectorELNS0_4arch9wavefront6targetE1EEEvSY_
	.globl	_ZN7rocprim17ROCPRIM_400000_NS6detail17trampoline_kernelINS0_14default_configENS1_22reduce_config_selectorIN6thrust23THRUST_200600_302600_NS5tupleIbffNS6_9null_typeES8_S8_S8_S8_S8_S8_EEEEZNS1_11reduce_implILb1ES3_NS6_11hip_rocprim26transform_input_iterator_tIS9_NS6_12zip_iteratorINS7_INS6_17counting_iteratorIiNS6_11use_defaultESG_SG_EENS6_6detail15normal_iteratorINS6_10device_ptrIfEEEES8_S8_S8_S8_S8_S8_S8_S8_EEEE15transform_tupleIifEEEPS9_S9_12reduce_tupleIifEEE10hipError_tPvRmT1_T2_T3_mT4_P12ihipStream_tbEUlT_E1_NS1_11comp_targetILNS1_3genE9ELNS1_11target_archE1100ELNS1_3gpuE3ELNS1_3repE0EEENS1_30default_config_static_selectorELNS0_4arch9wavefront6targetE1EEEvSY_
	.p2align	8
	.type	_ZN7rocprim17ROCPRIM_400000_NS6detail17trampoline_kernelINS0_14default_configENS1_22reduce_config_selectorIN6thrust23THRUST_200600_302600_NS5tupleIbffNS6_9null_typeES8_S8_S8_S8_S8_S8_EEEEZNS1_11reduce_implILb1ES3_NS6_11hip_rocprim26transform_input_iterator_tIS9_NS6_12zip_iteratorINS7_INS6_17counting_iteratorIiNS6_11use_defaultESG_SG_EENS6_6detail15normal_iteratorINS6_10device_ptrIfEEEES8_S8_S8_S8_S8_S8_S8_S8_EEEE15transform_tupleIifEEEPS9_S9_12reduce_tupleIifEEE10hipError_tPvRmT1_T2_T3_mT4_P12ihipStream_tbEUlT_E1_NS1_11comp_targetILNS1_3genE9ELNS1_11target_archE1100ELNS1_3gpuE3ELNS1_3repE0EEENS1_30default_config_static_selectorELNS0_4arch9wavefront6targetE1EEEvSY_,@function
_ZN7rocprim17ROCPRIM_400000_NS6detail17trampoline_kernelINS0_14default_configENS1_22reduce_config_selectorIN6thrust23THRUST_200600_302600_NS5tupleIbffNS6_9null_typeES8_S8_S8_S8_S8_S8_EEEEZNS1_11reduce_implILb1ES3_NS6_11hip_rocprim26transform_input_iterator_tIS9_NS6_12zip_iteratorINS7_INS6_17counting_iteratorIiNS6_11use_defaultESG_SG_EENS6_6detail15normal_iteratorINS6_10device_ptrIfEEEES8_S8_S8_S8_S8_S8_S8_S8_EEEE15transform_tupleIifEEEPS9_S9_12reduce_tupleIifEEE10hipError_tPvRmT1_T2_T3_mT4_P12ihipStream_tbEUlT_E1_NS1_11comp_targetILNS1_3genE9ELNS1_11target_archE1100ELNS1_3gpuE3ELNS1_3repE0EEENS1_30default_config_static_selectorELNS0_4arch9wavefront6targetE1EEEvSY_: ; @_ZN7rocprim17ROCPRIM_400000_NS6detail17trampoline_kernelINS0_14default_configENS1_22reduce_config_selectorIN6thrust23THRUST_200600_302600_NS5tupleIbffNS6_9null_typeES8_S8_S8_S8_S8_S8_EEEEZNS1_11reduce_implILb1ES3_NS6_11hip_rocprim26transform_input_iterator_tIS9_NS6_12zip_iteratorINS7_INS6_17counting_iteratorIiNS6_11use_defaultESG_SG_EENS6_6detail15normal_iteratorINS6_10device_ptrIfEEEES8_S8_S8_S8_S8_S8_S8_S8_EEEE15transform_tupleIifEEEPS9_S9_12reduce_tupleIifEEE10hipError_tPvRmT1_T2_T3_mT4_P12ihipStream_tbEUlT_E1_NS1_11comp_targetILNS1_3genE9ELNS1_11target_archE1100ELNS1_3gpuE3ELNS1_3repE0EEENS1_30default_config_static_selectorELNS0_4arch9wavefront6targetE1EEEvSY_
; %bb.0:
	.section	.rodata,"a",@progbits
	.p2align	6, 0x0
	.amdhsa_kernel _ZN7rocprim17ROCPRIM_400000_NS6detail17trampoline_kernelINS0_14default_configENS1_22reduce_config_selectorIN6thrust23THRUST_200600_302600_NS5tupleIbffNS6_9null_typeES8_S8_S8_S8_S8_S8_EEEEZNS1_11reduce_implILb1ES3_NS6_11hip_rocprim26transform_input_iterator_tIS9_NS6_12zip_iteratorINS7_INS6_17counting_iteratorIiNS6_11use_defaultESG_SG_EENS6_6detail15normal_iteratorINS6_10device_ptrIfEEEES8_S8_S8_S8_S8_S8_S8_S8_EEEE15transform_tupleIifEEEPS9_S9_12reduce_tupleIifEEE10hipError_tPvRmT1_T2_T3_mT4_P12ihipStream_tbEUlT_E1_NS1_11comp_targetILNS1_3genE9ELNS1_11target_archE1100ELNS1_3gpuE3ELNS1_3repE0EEENS1_30default_config_static_selectorELNS0_4arch9wavefront6targetE1EEEvSY_
		.amdhsa_group_segment_fixed_size 0
		.amdhsa_private_segment_fixed_size 0
		.amdhsa_kernarg_size 64
		.amdhsa_user_sgpr_count 6
		.amdhsa_user_sgpr_private_segment_buffer 1
		.amdhsa_user_sgpr_dispatch_ptr 0
		.amdhsa_user_sgpr_queue_ptr 0
		.amdhsa_user_sgpr_kernarg_segment_ptr 1
		.amdhsa_user_sgpr_dispatch_id 0
		.amdhsa_user_sgpr_flat_scratch_init 0
		.amdhsa_user_sgpr_private_segment_size 0
		.amdhsa_uses_dynamic_stack 0
		.amdhsa_system_sgpr_private_segment_wavefront_offset 0
		.amdhsa_system_sgpr_workgroup_id_x 1
		.amdhsa_system_sgpr_workgroup_id_y 0
		.amdhsa_system_sgpr_workgroup_id_z 0
		.amdhsa_system_sgpr_workgroup_info 0
		.amdhsa_system_vgpr_workitem_id 0
		.amdhsa_next_free_vgpr 1
		.amdhsa_next_free_sgpr 0
		.amdhsa_reserve_vcc 0
		.amdhsa_reserve_flat_scratch 0
		.amdhsa_float_round_mode_32 0
		.amdhsa_float_round_mode_16_64 0
		.amdhsa_float_denorm_mode_32 3
		.amdhsa_float_denorm_mode_16_64 3
		.amdhsa_dx10_clamp 1
		.amdhsa_ieee_mode 1
		.amdhsa_fp16_overflow 0
		.amdhsa_exception_fp_ieee_invalid_op 0
		.amdhsa_exception_fp_denorm_src 0
		.amdhsa_exception_fp_ieee_div_zero 0
		.amdhsa_exception_fp_ieee_overflow 0
		.amdhsa_exception_fp_ieee_underflow 0
		.amdhsa_exception_fp_ieee_inexact 0
		.amdhsa_exception_int_div_zero 0
	.end_amdhsa_kernel
	.section	.text._ZN7rocprim17ROCPRIM_400000_NS6detail17trampoline_kernelINS0_14default_configENS1_22reduce_config_selectorIN6thrust23THRUST_200600_302600_NS5tupleIbffNS6_9null_typeES8_S8_S8_S8_S8_S8_EEEEZNS1_11reduce_implILb1ES3_NS6_11hip_rocprim26transform_input_iterator_tIS9_NS6_12zip_iteratorINS7_INS6_17counting_iteratorIiNS6_11use_defaultESG_SG_EENS6_6detail15normal_iteratorINS6_10device_ptrIfEEEES8_S8_S8_S8_S8_S8_S8_S8_EEEE15transform_tupleIifEEEPS9_S9_12reduce_tupleIifEEE10hipError_tPvRmT1_T2_T3_mT4_P12ihipStream_tbEUlT_E1_NS1_11comp_targetILNS1_3genE9ELNS1_11target_archE1100ELNS1_3gpuE3ELNS1_3repE0EEENS1_30default_config_static_selectorELNS0_4arch9wavefront6targetE1EEEvSY_,"axG",@progbits,_ZN7rocprim17ROCPRIM_400000_NS6detail17trampoline_kernelINS0_14default_configENS1_22reduce_config_selectorIN6thrust23THRUST_200600_302600_NS5tupleIbffNS6_9null_typeES8_S8_S8_S8_S8_S8_EEEEZNS1_11reduce_implILb1ES3_NS6_11hip_rocprim26transform_input_iterator_tIS9_NS6_12zip_iteratorINS7_INS6_17counting_iteratorIiNS6_11use_defaultESG_SG_EENS6_6detail15normal_iteratorINS6_10device_ptrIfEEEES8_S8_S8_S8_S8_S8_S8_S8_EEEE15transform_tupleIifEEEPS9_S9_12reduce_tupleIifEEE10hipError_tPvRmT1_T2_T3_mT4_P12ihipStream_tbEUlT_E1_NS1_11comp_targetILNS1_3genE9ELNS1_11target_archE1100ELNS1_3gpuE3ELNS1_3repE0EEENS1_30default_config_static_selectorELNS0_4arch9wavefront6targetE1EEEvSY_,comdat
.Lfunc_end35:
	.size	_ZN7rocprim17ROCPRIM_400000_NS6detail17trampoline_kernelINS0_14default_configENS1_22reduce_config_selectorIN6thrust23THRUST_200600_302600_NS5tupleIbffNS6_9null_typeES8_S8_S8_S8_S8_S8_EEEEZNS1_11reduce_implILb1ES3_NS6_11hip_rocprim26transform_input_iterator_tIS9_NS6_12zip_iteratorINS7_INS6_17counting_iteratorIiNS6_11use_defaultESG_SG_EENS6_6detail15normal_iteratorINS6_10device_ptrIfEEEES8_S8_S8_S8_S8_S8_S8_S8_EEEE15transform_tupleIifEEEPS9_S9_12reduce_tupleIifEEE10hipError_tPvRmT1_T2_T3_mT4_P12ihipStream_tbEUlT_E1_NS1_11comp_targetILNS1_3genE9ELNS1_11target_archE1100ELNS1_3gpuE3ELNS1_3repE0EEENS1_30default_config_static_selectorELNS0_4arch9wavefront6targetE1EEEvSY_, .Lfunc_end35-_ZN7rocprim17ROCPRIM_400000_NS6detail17trampoline_kernelINS0_14default_configENS1_22reduce_config_selectorIN6thrust23THRUST_200600_302600_NS5tupleIbffNS6_9null_typeES8_S8_S8_S8_S8_S8_EEEEZNS1_11reduce_implILb1ES3_NS6_11hip_rocprim26transform_input_iterator_tIS9_NS6_12zip_iteratorINS7_INS6_17counting_iteratorIiNS6_11use_defaultESG_SG_EENS6_6detail15normal_iteratorINS6_10device_ptrIfEEEES8_S8_S8_S8_S8_S8_S8_S8_EEEE15transform_tupleIifEEEPS9_S9_12reduce_tupleIifEEE10hipError_tPvRmT1_T2_T3_mT4_P12ihipStream_tbEUlT_E1_NS1_11comp_targetILNS1_3genE9ELNS1_11target_archE1100ELNS1_3gpuE3ELNS1_3repE0EEENS1_30default_config_static_selectorELNS0_4arch9wavefront6targetE1EEEvSY_
                                        ; -- End function
	.set _ZN7rocprim17ROCPRIM_400000_NS6detail17trampoline_kernelINS0_14default_configENS1_22reduce_config_selectorIN6thrust23THRUST_200600_302600_NS5tupleIbffNS6_9null_typeES8_S8_S8_S8_S8_S8_EEEEZNS1_11reduce_implILb1ES3_NS6_11hip_rocprim26transform_input_iterator_tIS9_NS6_12zip_iteratorINS7_INS6_17counting_iteratorIiNS6_11use_defaultESG_SG_EENS6_6detail15normal_iteratorINS6_10device_ptrIfEEEES8_S8_S8_S8_S8_S8_S8_S8_EEEE15transform_tupleIifEEEPS9_S9_12reduce_tupleIifEEE10hipError_tPvRmT1_T2_T3_mT4_P12ihipStream_tbEUlT_E1_NS1_11comp_targetILNS1_3genE9ELNS1_11target_archE1100ELNS1_3gpuE3ELNS1_3repE0EEENS1_30default_config_static_selectorELNS0_4arch9wavefront6targetE1EEEvSY_.num_vgpr, 0
	.set _ZN7rocprim17ROCPRIM_400000_NS6detail17trampoline_kernelINS0_14default_configENS1_22reduce_config_selectorIN6thrust23THRUST_200600_302600_NS5tupleIbffNS6_9null_typeES8_S8_S8_S8_S8_S8_EEEEZNS1_11reduce_implILb1ES3_NS6_11hip_rocprim26transform_input_iterator_tIS9_NS6_12zip_iteratorINS7_INS6_17counting_iteratorIiNS6_11use_defaultESG_SG_EENS6_6detail15normal_iteratorINS6_10device_ptrIfEEEES8_S8_S8_S8_S8_S8_S8_S8_EEEE15transform_tupleIifEEEPS9_S9_12reduce_tupleIifEEE10hipError_tPvRmT1_T2_T3_mT4_P12ihipStream_tbEUlT_E1_NS1_11comp_targetILNS1_3genE9ELNS1_11target_archE1100ELNS1_3gpuE3ELNS1_3repE0EEENS1_30default_config_static_selectorELNS0_4arch9wavefront6targetE1EEEvSY_.num_agpr, 0
	.set _ZN7rocprim17ROCPRIM_400000_NS6detail17trampoline_kernelINS0_14default_configENS1_22reduce_config_selectorIN6thrust23THRUST_200600_302600_NS5tupleIbffNS6_9null_typeES8_S8_S8_S8_S8_S8_EEEEZNS1_11reduce_implILb1ES3_NS6_11hip_rocprim26transform_input_iterator_tIS9_NS6_12zip_iteratorINS7_INS6_17counting_iteratorIiNS6_11use_defaultESG_SG_EENS6_6detail15normal_iteratorINS6_10device_ptrIfEEEES8_S8_S8_S8_S8_S8_S8_S8_EEEE15transform_tupleIifEEEPS9_S9_12reduce_tupleIifEEE10hipError_tPvRmT1_T2_T3_mT4_P12ihipStream_tbEUlT_E1_NS1_11comp_targetILNS1_3genE9ELNS1_11target_archE1100ELNS1_3gpuE3ELNS1_3repE0EEENS1_30default_config_static_selectorELNS0_4arch9wavefront6targetE1EEEvSY_.numbered_sgpr, 0
	.set _ZN7rocprim17ROCPRIM_400000_NS6detail17trampoline_kernelINS0_14default_configENS1_22reduce_config_selectorIN6thrust23THRUST_200600_302600_NS5tupleIbffNS6_9null_typeES8_S8_S8_S8_S8_S8_EEEEZNS1_11reduce_implILb1ES3_NS6_11hip_rocprim26transform_input_iterator_tIS9_NS6_12zip_iteratorINS7_INS6_17counting_iteratorIiNS6_11use_defaultESG_SG_EENS6_6detail15normal_iteratorINS6_10device_ptrIfEEEES8_S8_S8_S8_S8_S8_S8_S8_EEEE15transform_tupleIifEEEPS9_S9_12reduce_tupleIifEEE10hipError_tPvRmT1_T2_T3_mT4_P12ihipStream_tbEUlT_E1_NS1_11comp_targetILNS1_3genE9ELNS1_11target_archE1100ELNS1_3gpuE3ELNS1_3repE0EEENS1_30default_config_static_selectorELNS0_4arch9wavefront6targetE1EEEvSY_.num_named_barrier, 0
	.set _ZN7rocprim17ROCPRIM_400000_NS6detail17trampoline_kernelINS0_14default_configENS1_22reduce_config_selectorIN6thrust23THRUST_200600_302600_NS5tupleIbffNS6_9null_typeES8_S8_S8_S8_S8_S8_EEEEZNS1_11reduce_implILb1ES3_NS6_11hip_rocprim26transform_input_iterator_tIS9_NS6_12zip_iteratorINS7_INS6_17counting_iteratorIiNS6_11use_defaultESG_SG_EENS6_6detail15normal_iteratorINS6_10device_ptrIfEEEES8_S8_S8_S8_S8_S8_S8_S8_EEEE15transform_tupleIifEEEPS9_S9_12reduce_tupleIifEEE10hipError_tPvRmT1_T2_T3_mT4_P12ihipStream_tbEUlT_E1_NS1_11comp_targetILNS1_3genE9ELNS1_11target_archE1100ELNS1_3gpuE3ELNS1_3repE0EEENS1_30default_config_static_selectorELNS0_4arch9wavefront6targetE1EEEvSY_.private_seg_size, 0
	.set _ZN7rocprim17ROCPRIM_400000_NS6detail17trampoline_kernelINS0_14default_configENS1_22reduce_config_selectorIN6thrust23THRUST_200600_302600_NS5tupleIbffNS6_9null_typeES8_S8_S8_S8_S8_S8_EEEEZNS1_11reduce_implILb1ES3_NS6_11hip_rocprim26transform_input_iterator_tIS9_NS6_12zip_iteratorINS7_INS6_17counting_iteratorIiNS6_11use_defaultESG_SG_EENS6_6detail15normal_iteratorINS6_10device_ptrIfEEEES8_S8_S8_S8_S8_S8_S8_S8_EEEE15transform_tupleIifEEEPS9_S9_12reduce_tupleIifEEE10hipError_tPvRmT1_T2_T3_mT4_P12ihipStream_tbEUlT_E1_NS1_11comp_targetILNS1_3genE9ELNS1_11target_archE1100ELNS1_3gpuE3ELNS1_3repE0EEENS1_30default_config_static_selectorELNS0_4arch9wavefront6targetE1EEEvSY_.uses_vcc, 0
	.set _ZN7rocprim17ROCPRIM_400000_NS6detail17trampoline_kernelINS0_14default_configENS1_22reduce_config_selectorIN6thrust23THRUST_200600_302600_NS5tupleIbffNS6_9null_typeES8_S8_S8_S8_S8_S8_EEEEZNS1_11reduce_implILb1ES3_NS6_11hip_rocprim26transform_input_iterator_tIS9_NS6_12zip_iteratorINS7_INS6_17counting_iteratorIiNS6_11use_defaultESG_SG_EENS6_6detail15normal_iteratorINS6_10device_ptrIfEEEES8_S8_S8_S8_S8_S8_S8_S8_EEEE15transform_tupleIifEEEPS9_S9_12reduce_tupleIifEEE10hipError_tPvRmT1_T2_T3_mT4_P12ihipStream_tbEUlT_E1_NS1_11comp_targetILNS1_3genE9ELNS1_11target_archE1100ELNS1_3gpuE3ELNS1_3repE0EEENS1_30default_config_static_selectorELNS0_4arch9wavefront6targetE1EEEvSY_.uses_flat_scratch, 0
	.set _ZN7rocprim17ROCPRIM_400000_NS6detail17trampoline_kernelINS0_14default_configENS1_22reduce_config_selectorIN6thrust23THRUST_200600_302600_NS5tupleIbffNS6_9null_typeES8_S8_S8_S8_S8_S8_EEEEZNS1_11reduce_implILb1ES3_NS6_11hip_rocprim26transform_input_iterator_tIS9_NS6_12zip_iteratorINS7_INS6_17counting_iteratorIiNS6_11use_defaultESG_SG_EENS6_6detail15normal_iteratorINS6_10device_ptrIfEEEES8_S8_S8_S8_S8_S8_S8_S8_EEEE15transform_tupleIifEEEPS9_S9_12reduce_tupleIifEEE10hipError_tPvRmT1_T2_T3_mT4_P12ihipStream_tbEUlT_E1_NS1_11comp_targetILNS1_3genE9ELNS1_11target_archE1100ELNS1_3gpuE3ELNS1_3repE0EEENS1_30default_config_static_selectorELNS0_4arch9wavefront6targetE1EEEvSY_.has_dyn_sized_stack, 0
	.set _ZN7rocprim17ROCPRIM_400000_NS6detail17trampoline_kernelINS0_14default_configENS1_22reduce_config_selectorIN6thrust23THRUST_200600_302600_NS5tupleIbffNS6_9null_typeES8_S8_S8_S8_S8_S8_EEEEZNS1_11reduce_implILb1ES3_NS6_11hip_rocprim26transform_input_iterator_tIS9_NS6_12zip_iteratorINS7_INS6_17counting_iteratorIiNS6_11use_defaultESG_SG_EENS6_6detail15normal_iteratorINS6_10device_ptrIfEEEES8_S8_S8_S8_S8_S8_S8_S8_EEEE15transform_tupleIifEEEPS9_S9_12reduce_tupleIifEEE10hipError_tPvRmT1_T2_T3_mT4_P12ihipStream_tbEUlT_E1_NS1_11comp_targetILNS1_3genE9ELNS1_11target_archE1100ELNS1_3gpuE3ELNS1_3repE0EEENS1_30default_config_static_selectorELNS0_4arch9wavefront6targetE1EEEvSY_.has_recursion, 0
	.set _ZN7rocprim17ROCPRIM_400000_NS6detail17trampoline_kernelINS0_14default_configENS1_22reduce_config_selectorIN6thrust23THRUST_200600_302600_NS5tupleIbffNS6_9null_typeES8_S8_S8_S8_S8_S8_EEEEZNS1_11reduce_implILb1ES3_NS6_11hip_rocprim26transform_input_iterator_tIS9_NS6_12zip_iteratorINS7_INS6_17counting_iteratorIiNS6_11use_defaultESG_SG_EENS6_6detail15normal_iteratorINS6_10device_ptrIfEEEES8_S8_S8_S8_S8_S8_S8_S8_EEEE15transform_tupleIifEEEPS9_S9_12reduce_tupleIifEEE10hipError_tPvRmT1_T2_T3_mT4_P12ihipStream_tbEUlT_E1_NS1_11comp_targetILNS1_3genE9ELNS1_11target_archE1100ELNS1_3gpuE3ELNS1_3repE0EEENS1_30default_config_static_selectorELNS0_4arch9wavefront6targetE1EEEvSY_.has_indirect_call, 0
	.section	.AMDGPU.csdata,"",@progbits
; Kernel info:
; codeLenInByte = 0
; TotalNumSgprs: 4
; NumVgprs: 0
; ScratchSize: 0
; MemoryBound: 0
; FloatMode: 240
; IeeeMode: 1
; LDSByteSize: 0 bytes/workgroup (compile time only)
; SGPRBlocks: 0
; VGPRBlocks: 0
; NumSGPRsForWavesPerEU: 4
; NumVGPRsForWavesPerEU: 1
; Occupancy: 10
; WaveLimiterHint : 0
; COMPUTE_PGM_RSRC2:SCRATCH_EN: 0
; COMPUTE_PGM_RSRC2:USER_SGPR: 6
; COMPUTE_PGM_RSRC2:TRAP_HANDLER: 0
; COMPUTE_PGM_RSRC2:TGID_X_EN: 1
; COMPUTE_PGM_RSRC2:TGID_Y_EN: 0
; COMPUTE_PGM_RSRC2:TGID_Z_EN: 0
; COMPUTE_PGM_RSRC2:TIDIG_COMP_CNT: 0
	.section	.text._ZN7rocprim17ROCPRIM_400000_NS6detail17trampoline_kernelINS0_14default_configENS1_22reduce_config_selectorIN6thrust23THRUST_200600_302600_NS5tupleIbffNS6_9null_typeES8_S8_S8_S8_S8_S8_EEEEZNS1_11reduce_implILb1ES3_NS6_11hip_rocprim26transform_input_iterator_tIS9_NS6_12zip_iteratorINS7_INS6_17counting_iteratorIiNS6_11use_defaultESG_SG_EENS6_6detail15normal_iteratorINS6_10device_ptrIfEEEES8_S8_S8_S8_S8_S8_S8_S8_EEEE15transform_tupleIifEEEPS9_S9_12reduce_tupleIifEEE10hipError_tPvRmT1_T2_T3_mT4_P12ihipStream_tbEUlT_E1_NS1_11comp_targetILNS1_3genE8ELNS1_11target_archE1030ELNS1_3gpuE2ELNS1_3repE0EEENS1_30default_config_static_selectorELNS0_4arch9wavefront6targetE1EEEvSY_,"axG",@progbits,_ZN7rocprim17ROCPRIM_400000_NS6detail17trampoline_kernelINS0_14default_configENS1_22reduce_config_selectorIN6thrust23THRUST_200600_302600_NS5tupleIbffNS6_9null_typeES8_S8_S8_S8_S8_S8_EEEEZNS1_11reduce_implILb1ES3_NS6_11hip_rocprim26transform_input_iterator_tIS9_NS6_12zip_iteratorINS7_INS6_17counting_iteratorIiNS6_11use_defaultESG_SG_EENS6_6detail15normal_iteratorINS6_10device_ptrIfEEEES8_S8_S8_S8_S8_S8_S8_S8_EEEE15transform_tupleIifEEEPS9_S9_12reduce_tupleIifEEE10hipError_tPvRmT1_T2_T3_mT4_P12ihipStream_tbEUlT_E1_NS1_11comp_targetILNS1_3genE8ELNS1_11target_archE1030ELNS1_3gpuE2ELNS1_3repE0EEENS1_30default_config_static_selectorELNS0_4arch9wavefront6targetE1EEEvSY_,comdat
	.protected	_ZN7rocprim17ROCPRIM_400000_NS6detail17trampoline_kernelINS0_14default_configENS1_22reduce_config_selectorIN6thrust23THRUST_200600_302600_NS5tupleIbffNS6_9null_typeES8_S8_S8_S8_S8_S8_EEEEZNS1_11reduce_implILb1ES3_NS6_11hip_rocprim26transform_input_iterator_tIS9_NS6_12zip_iteratorINS7_INS6_17counting_iteratorIiNS6_11use_defaultESG_SG_EENS6_6detail15normal_iteratorINS6_10device_ptrIfEEEES8_S8_S8_S8_S8_S8_S8_S8_EEEE15transform_tupleIifEEEPS9_S9_12reduce_tupleIifEEE10hipError_tPvRmT1_T2_T3_mT4_P12ihipStream_tbEUlT_E1_NS1_11comp_targetILNS1_3genE8ELNS1_11target_archE1030ELNS1_3gpuE2ELNS1_3repE0EEENS1_30default_config_static_selectorELNS0_4arch9wavefront6targetE1EEEvSY_ ; -- Begin function _ZN7rocprim17ROCPRIM_400000_NS6detail17trampoline_kernelINS0_14default_configENS1_22reduce_config_selectorIN6thrust23THRUST_200600_302600_NS5tupleIbffNS6_9null_typeES8_S8_S8_S8_S8_S8_EEEEZNS1_11reduce_implILb1ES3_NS6_11hip_rocprim26transform_input_iterator_tIS9_NS6_12zip_iteratorINS7_INS6_17counting_iteratorIiNS6_11use_defaultESG_SG_EENS6_6detail15normal_iteratorINS6_10device_ptrIfEEEES8_S8_S8_S8_S8_S8_S8_S8_EEEE15transform_tupleIifEEEPS9_S9_12reduce_tupleIifEEE10hipError_tPvRmT1_T2_T3_mT4_P12ihipStream_tbEUlT_E1_NS1_11comp_targetILNS1_3genE8ELNS1_11target_archE1030ELNS1_3gpuE2ELNS1_3repE0EEENS1_30default_config_static_selectorELNS0_4arch9wavefront6targetE1EEEvSY_
	.globl	_ZN7rocprim17ROCPRIM_400000_NS6detail17trampoline_kernelINS0_14default_configENS1_22reduce_config_selectorIN6thrust23THRUST_200600_302600_NS5tupleIbffNS6_9null_typeES8_S8_S8_S8_S8_S8_EEEEZNS1_11reduce_implILb1ES3_NS6_11hip_rocprim26transform_input_iterator_tIS9_NS6_12zip_iteratorINS7_INS6_17counting_iteratorIiNS6_11use_defaultESG_SG_EENS6_6detail15normal_iteratorINS6_10device_ptrIfEEEES8_S8_S8_S8_S8_S8_S8_S8_EEEE15transform_tupleIifEEEPS9_S9_12reduce_tupleIifEEE10hipError_tPvRmT1_T2_T3_mT4_P12ihipStream_tbEUlT_E1_NS1_11comp_targetILNS1_3genE8ELNS1_11target_archE1030ELNS1_3gpuE2ELNS1_3repE0EEENS1_30default_config_static_selectorELNS0_4arch9wavefront6targetE1EEEvSY_
	.p2align	8
	.type	_ZN7rocprim17ROCPRIM_400000_NS6detail17trampoline_kernelINS0_14default_configENS1_22reduce_config_selectorIN6thrust23THRUST_200600_302600_NS5tupleIbffNS6_9null_typeES8_S8_S8_S8_S8_S8_EEEEZNS1_11reduce_implILb1ES3_NS6_11hip_rocprim26transform_input_iterator_tIS9_NS6_12zip_iteratorINS7_INS6_17counting_iteratorIiNS6_11use_defaultESG_SG_EENS6_6detail15normal_iteratorINS6_10device_ptrIfEEEES8_S8_S8_S8_S8_S8_S8_S8_EEEE15transform_tupleIifEEEPS9_S9_12reduce_tupleIifEEE10hipError_tPvRmT1_T2_T3_mT4_P12ihipStream_tbEUlT_E1_NS1_11comp_targetILNS1_3genE8ELNS1_11target_archE1030ELNS1_3gpuE2ELNS1_3repE0EEENS1_30default_config_static_selectorELNS0_4arch9wavefront6targetE1EEEvSY_,@function
_ZN7rocprim17ROCPRIM_400000_NS6detail17trampoline_kernelINS0_14default_configENS1_22reduce_config_selectorIN6thrust23THRUST_200600_302600_NS5tupleIbffNS6_9null_typeES8_S8_S8_S8_S8_S8_EEEEZNS1_11reduce_implILb1ES3_NS6_11hip_rocprim26transform_input_iterator_tIS9_NS6_12zip_iteratorINS7_INS6_17counting_iteratorIiNS6_11use_defaultESG_SG_EENS6_6detail15normal_iteratorINS6_10device_ptrIfEEEES8_S8_S8_S8_S8_S8_S8_S8_EEEE15transform_tupleIifEEEPS9_S9_12reduce_tupleIifEEE10hipError_tPvRmT1_T2_T3_mT4_P12ihipStream_tbEUlT_E1_NS1_11comp_targetILNS1_3genE8ELNS1_11target_archE1030ELNS1_3gpuE2ELNS1_3repE0EEENS1_30default_config_static_selectorELNS0_4arch9wavefront6targetE1EEEvSY_: ; @_ZN7rocprim17ROCPRIM_400000_NS6detail17trampoline_kernelINS0_14default_configENS1_22reduce_config_selectorIN6thrust23THRUST_200600_302600_NS5tupleIbffNS6_9null_typeES8_S8_S8_S8_S8_S8_EEEEZNS1_11reduce_implILb1ES3_NS6_11hip_rocprim26transform_input_iterator_tIS9_NS6_12zip_iteratorINS7_INS6_17counting_iteratorIiNS6_11use_defaultESG_SG_EENS6_6detail15normal_iteratorINS6_10device_ptrIfEEEES8_S8_S8_S8_S8_S8_S8_S8_EEEE15transform_tupleIifEEEPS9_S9_12reduce_tupleIifEEE10hipError_tPvRmT1_T2_T3_mT4_P12ihipStream_tbEUlT_E1_NS1_11comp_targetILNS1_3genE8ELNS1_11target_archE1030ELNS1_3gpuE2ELNS1_3repE0EEENS1_30default_config_static_selectorELNS0_4arch9wavefront6targetE1EEEvSY_
; %bb.0:
	.section	.rodata,"a",@progbits
	.p2align	6, 0x0
	.amdhsa_kernel _ZN7rocprim17ROCPRIM_400000_NS6detail17trampoline_kernelINS0_14default_configENS1_22reduce_config_selectorIN6thrust23THRUST_200600_302600_NS5tupleIbffNS6_9null_typeES8_S8_S8_S8_S8_S8_EEEEZNS1_11reduce_implILb1ES3_NS6_11hip_rocprim26transform_input_iterator_tIS9_NS6_12zip_iteratorINS7_INS6_17counting_iteratorIiNS6_11use_defaultESG_SG_EENS6_6detail15normal_iteratorINS6_10device_ptrIfEEEES8_S8_S8_S8_S8_S8_S8_S8_EEEE15transform_tupleIifEEEPS9_S9_12reduce_tupleIifEEE10hipError_tPvRmT1_T2_T3_mT4_P12ihipStream_tbEUlT_E1_NS1_11comp_targetILNS1_3genE8ELNS1_11target_archE1030ELNS1_3gpuE2ELNS1_3repE0EEENS1_30default_config_static_selectorELNS0_4arch9wavefront6targetE1EEEvSY_
		.amdhsa_group_segment_fixed_size 0
		.amdhsa_private_segment_fixed_size 0
		.amdhsa_kernarg_size 64
		.amdhsa_user_sgpr_count 6
		.amdhsa_user_sgpr_private_segment_buffer 1
		.amdhsa_user_sgpr_dispatch_ptr 0
		.amdhsa_user_sgpr_queue_ptr 0
		.amdhsa_user_sgpr_kernarg_segment_ptr 1
		.amdhsa_user_sgpr_dispatch_id 0
		.amdhsa_user_sgpr_flat_scratch_init 0
		.amdhsa_user_sgpr_private_segment_size 0
		.amdhsa_uses_dynamic_stack 0
		.amdhsa_system_sgpr_private_segment_wavefront_offset 0
		.amdhsa_system_sgpr_workgroup_id_x 1
		.amdhsa_system_sgpr_workgroup_id_y 0
		.amdhsa_system_sgpr_workgroup_id_z 0
		.amdhsa_system_sgpr_workgroup_info 0
		.amdhsa_system_vgpr_workitem_id 0
		.amdhsa_next_free_vgpr 1
		.amdhsa_next_free_sgpr 0
		.amdhsa_reserve_vcc 0
		.amdhsa_reserve_flat_scratch 0
		.amdhsa_float_round_mode_32 0
		.amdhsa_float_round_mode_16_64 0
		.amdhsa_float_denorm_mode_32 3
		.amdhsa_float_denorm_mode_16_64 3
		.amdhsa_dx10_clamp 1
		.amdhsa_ieee_mode 1
		.amdhsa_fp16_overflow 0
		.amdhsa_exception_fp_ieee_invalid_op 0
		.amdhsa_exception_fp_denorm_src 0
		.amdhsa_exception_fp_ieee_div_zero 0
		.amdhsa_exception_fp_ieee_overflow 0
		.amdhsa_exception_fp_ieee_underflow 0
		.amdhsa_exception_fp_ieee_inexact 0
		.amdhsa_exception_int_div_zero 0
	.end_amdhsa_kernel
	.section	.text._ZN7rocprim17ROCPRIM_400000_NS6detail17trampoline_kernelINS0_14default_configENS1_22reduce_config_selectorIN6thrust23THRUST_200600_302600_NS5tupleIbffNS6_9null_typeES8_S8_S8_S8_S8_S8_EEEEZNS1_11reduce_implILb1ES3_NS6_11hip_rocprim26transform_input_iterator_tIS9_NS6_12zip_iteratorINS7_INS6_17counting_iteratorIiNS6_11use_defaultESG_SG_EENS6_6detail15normal_iteratorINS6_10device_ptrIfEEEES8_S8_S8_S8_S8_S8_S8_S8_EEEE15transform_tupleIifEEEPS9_S9_12reduce_tupleIifEEE10hipError_tPvRmT1_T2_T3_mT4_P12ihipStream_tbEUlT_E1_NS1_11comp_targetILNS1_3genE8ELNS1_11target_archE1030ELNS1_3gpuE2ELNS1_3repE0EEENS1_30default_config_static_selectorELNS0_4arch9wavefront6targetE1EEEvSY_,"axG",@progbits,_ZN7rocprim17ROCPRIM_400000_NS6detail17trampoline_kernelINS0_14default_configENS1_22reduce_config_selectorIN6thrust23THRUST_200600_302600_NS5tupleIbffNS6_9null_typeES8_S8_S8_S8_S8_S8_EEEEZNS1_11reduce_implILb1ES3_NS6_11hip_rocprim26transform_input_iterator_tIS9_NS6_12zip_iteratorINS7_INS6_17counting_iteratorIiNS6_11use_defaultESG_SG_EENS6_6detail15normal_iteratorINS6_10device_ptrIfEEEES8_S8_S8_S8_S8_S8_S8_S8_EEEE15transform_tupleIifEEEPS9_S9_12reduce_tupleIifEEE10hipError_tPvRmT1_T2_T3_mT4_P12ihipStream_tbEUlT_E1_NS1_11comp_targetILNS1_3genE8ELNS1_11target_archE1030ELNS1_3gpuE2ELNS1_3repE0EEENS1_30default_config_static_selectorELNS0_4arch9wavefront6targetE1EEEvSY_,comdat
.Lfunc_end36:
	.size	_ZN7rocprim17ROCPRIM_400000_NS6detail17trampoline_kernelINS0_14default_configENS1_22reduce_config_selectorIN6thrust23THRUST_200600_302600_NS5tupleIbffNS6_9null_typeES8_S8_S8_S8_S8_S8_EEEEZNS1_11reduce_implILb1ES3_NS6_11hip_rocprim26transform_input_iterator_tIS9_NS6_12zip_iteratorINS7_INS6_17counting_iteratorIiNS6_11use_defaultESG_SG_EENS6_6detail15normal_iteratorINS6_10device_ptrIfEEEES8_S8_S8_S8_S8_S8_S8_S8_EEEE15transform_tupleIifEEEPS9_S9_12reduce_tupleIifEEE10hipError_tPvRmT1_T2_T3_mT4_P12ihipStream_tbEUlT_E1_NS1_11comp_targetILNS1_3genE8ELNS1_11target_archE1030ELNS1_3gpuE2ELNS1_3repE0EEENS1_30default_config_static_selectorELNS0_4arch9wavefront6targetE1EEEvSY_, .Lfunc_end36-_ZN7rocprim17ROCPRIM_400000_NS6detail17trampoline_kernelINS0_14default_configENS1_22reduce_config_selectorIN6thrust23THRUST_200600_302600_NS5tupleIbffNS6_9null_typeES8_S8_S8_S8_S8_S8_EEEEZNS1_11reduce_implILb1ES3_NS6_11hip_rocprim26transform_input_iterator_tIS9_NS6_12zip_iteratorINS7_INS6_17counting_iteratorIiNS6_11use_defaultESG_SG_EENS6_6detail15normal_iteratorINS6_10device_ptrIfEEEES8_S8_S8_S8_S8_S8_S8_S8_EEEE15transform_tupleIifEEEPS9_S9_12reduce_tupleIifEEE10hipError_tPvRmT1_T2_T3_mT4_P12ihipStream_tbEUlT_E1_NS1_11comp_targetILNS1_3genE8ELNS1_11target_archE1030ELNS1_3gpuE2ELNS1_3repE0EEENS1_30default_config_static_selectorELNS0_4arch9wavefront6targetE1EEEvSY_
                                        ; -- End function
	.set _ZN7rocprim17ROCPRIM_400000_NS6detail17trampoline_kernelINS0_14default_configENS1_22reduce_config_selectorIN6thrust23THRUST_200600_302600_NS5tupleIbffNS6_9null_typeES8_S8_S8_S8_S8_S8_EEEEZNS1_11reduce_implILb1ES3_NS6_11hip_rocprim26transform_input_iterator_tIS9_NS6_12zip_iteratorINS7_INS6_17counting_iteratorIiNS6_11use_defaultESG_SG_EENS6_6detail15normal_iteratorINS6_10device_ptrIfEEEES8_S8_S8_S8_S8_S8_S8_S8_EEEE15transform_tupleIifEEEPS9_S9_12reduce_tupleIifEEE10hipError_tPvRmT1_T2_T3_mT4_P12ihipStream_tbEUlT_E1_NS1_11comp_targetILNS1_3genE8ELNS1_11target_archE1030ELNS1_3gpuE2ELNS1_3repE0EEENS1_30default_config_static_selectorELNS0_4arch9wavefront6targetE1EEEvSY_.num_vgpr, 0
	.set _ZN7rocprim17ROCPRIM_400000_NS6detail17trampoline_kernelINS0_14default_configENS1_22reduce_config_selectorIN6thrust23THRUST_200600_302600_NS5tupleIbffNS6_9null_typeES8_S8_S8_S8_S8_S8_EEEEZNS1_11reduce_implILb1ES3_NS6_11hip_rocprim26transform_input_iterator_tIS9_NS6_12zip_iteratorINS7_INS6_17counting_iteratorIiNS6_11use_defaultESG_SG_EENS6_6detail15normal_iteratorINS6_10device_ptrIfEEEES8_S8_S8_S8_S8_S8_S8_S8_EEEE15transform_tupleIifEEEPS9_S9_12reduce_tupleIifEEE10hipError_tPvRmT1_T2_T3_mT4_P12ihipStream_tbEUlT_E1_NS1_11comp_targetILNS1_3genE8ELNS1_11target_archE1030ELNS1_3gpuE2ELNS1_3repE0EEENS1_30default_config_static_selectorELNS0_4arch9wavefront6targetE1EEEvSY_.num_agpr, 0
	.set _ZN7rocprim17ROCPRIM_400000_NS6detail17trampoline_kernelINS0_14default_configENS1_22reduce_config_selectorIN6thrust23THRUST_200600_302600_NS5tupleIbffNS6_9null_typeES8_S8_S8_S8_S8_S8_EEEEZNS1_11reduce_implILb1ES3_NS6_11hip_rocprim26transform_input_iterator_tIS9_NS6_12zip_iteratorINS7_INS6_17counting_iteratorIiNS6_11use_defaultESG_SG_EENS6_6detail15normal_iteratorINS6_10device_ptrIfEEEES8_S8_S8_S8_S8_S8_S8_S8_EEEE15transform_tupleIifEEEPS9_S9_12reduce_tupleIifEEE10hipError_tPvRmT1_T2_T3_mT4_P12ihipStream_tbEUlT_E1_NS1_11comp_targetILNS1_3genE8ELNS1_11target_archE1030ELNS1_3gpuE2ELNS1_3repE0EEENS1_30default_config_static_selectorELNS0_4arch9wavefront6targetE1EEEvSY_.numbered_sgpr, 0
	.set _ZN7rocprim17ROCPRIM_400000_NS6detail17trampoline_kernelINS0_14default_configENS1_22reduce_config_selectorIN6thrust23THRUST_200600_302600_NS5tupleIbffNS6_9null_typeES8_S8_S8_S8_S8_S8_EEEEZNS1_11reduce_implILb1ES3_NS6_11hip_rocprim26transform_input_iterator_tIS9_NS6_12zip_iteratorINS7_INS6_17counting_iteratorIiNS6_11use_defaultESG_SG_EENS6_6detail15normal_iteratorINS6_10device_ptrIfEEEES8_S8_S8_S8_S8_S8_S8_S8_EEEE15transform_tupleIifEEEPS9_S9_12reduce_tupleIifEEE10hipError_tPvRmT1_T2_T3_mT4_P12ihipStream_tbEUlT_E1_NS1_11comp_targetILNS1_3genE8ELNS1_11target_archE1030ELNS1_3gpuE2ELNS1_3repE0EEENS1_30default_config_static_selectorELNS0_4arch9wavefront6targetE1EEEvSY_.num_named_barrier, 0
	.set _ZN7rocprim17ROCPRIM_400000_NS6detail17trampoline_kernelINS0_14default_configENS1_22reduce_config_selectorIN6thrust23THRUST_200600_302600_NS5tupleIbffNS6_9null_typeES8_S8_S8_S8_S8_S8_EEEEZNS1_11reduce_implILb1ES3_NS6_11hip_rocprim26transform_input_iterator_tIS9_NS6_12zip_iteratorINS7_INS6_17counting_iteratorIiNS6_11use_defaultESG_SG_EENS6_6detail15normal_iteratorINS6_10device_ptrIfEEEES8_S8_S8_S8_S8_S8_S8_S8_EEEE15transform_tupleIifEEEPS9_S9_12reduce_tupleIifEEE10hipError_tPvRmT1_T2_T3_mT4_P12ihipStream_tbEUlT_E1_NS1_11comp_targetILNS1_3genE8ELNS1_11target_archE1030ELNS1_3gpuE2ELNS1_3repE0EEENS1_30default_config_static_selectorELNS0_4arch9wavefront6targetE1EEEvSY_.private_seg_size, 0
	.set _ZN7rocprim17ROCPRIM_400000_NS6detail17trampoline_kernelINS0_14default_configENS1_22reduce_config_selectorIN6thrust23THRUST_200600_302600_NS5tupleIbffNS6_9null_typeES8_S8_S8_S8_S8_S8_EEEEZNS1_11reduce_implILb1ES3_NS6_11hip_rocprim26transform_input_iterator_tIS9_NS6_12zip_iteratorINS7_INS6_17counting_iteratorIiNS6_11use_defaultESG_SG_EENS6_6detail15normal_iteratorINS6_10device_ptrIfEEEES8_S8_S8_S8_S8_S8_S8_S8_EEEE15transform_tupleIifEEEPS9_S9_12reduce_tupleIifEEE10hipError_tPvRmT1_T2_T3_mT4_P12ihipStream_tbEUlT_E1_NS1_11comp_targetILNS1_3genE8ELNS1_11target_archE1030ELNS1_3gpuE2ELNS1_3repE0EEENS1_30default_config_static_selectorELNS0_4arch9wavefront6targetE1EEEvSY_.uses_vcc, 0
	.set _ZN7rocprim17ROCPRIM_400000_NS6detail17trampoline_kernelINS0_14default_configENS1_22reduce_config_selectorIN6thrust23THRUST_200600_302600_NS5tupleIbffNS6_9null_typeES8_S8_S8_S8_S8_S8_EEEEZNS1_11reduce_implILb1ES3_NS6_11hip_rocprim26transform_input_iterator_tIS9_NS6_12zip_iteratorINS7_INS6_17counting_iteratorIiNS6_11use_defaultESG_SG_EENS6_6detail15normal_iteratorINS6_10device_ptrIfEEEES8_S8_S8_S8_S8_S8_S8_S8_EEEE15transform_tupleIifEEEPS9_S9_12reduce_tupleIifEEE10hipError_tPvRmT1_T2_T3_mT4_P12ihipStream_tbEUlT_E1_NS1_11comp_targetILNS1_3genE8ELNS1_11target_archE1030ELNS1_3gpuE2ELNS1_3repE0EEENS1_30default_config_static_selectorELNS0_4arch9wavefront6targetE1EEEvSY_.uses_flat_scratch, 0
	.set _ZN7rocprim17ROCPRIM_400000_NS6detail17trampoline_kernelINS0_14default_configENS1_22reduce_config_selectorIN6thrust23THRUST_200600_302600_NS5tupleIbffNS6_9null_typeES8_S8_S8_S8_S8_S8_EEEEZNS1_11reduce_implILb1ES3_NS6_11hip_rocprim26transform_input_iterator_tIS9_NS6_12zip_iteratorINS7_INS6_17counting_iteratorIiNS6_11use_defaultESG_SG_EENS6_6detail15normal_iteratorINS6_10device_ptrIfEEEES8_S8_S8_S8_S8_S8_S8_S8_EEEE15transform_tupleIifEEEPS9_S9_12reduce_tupleIifEEE10hipError_tPvRmT1_T2_T3_mT4_P12ihipStream_tbEUlT_E1_NS1_11comp_targetILNS1_3genE8ELNS1_11target_archE1030ELNS1_3gpuE2ELNS1_3repE0EEENS1_30default_config_static_selectorELNS0_4arch9wavefront6targetE1EEEvSY_.has_dyn_sized_stack, 0
	.set _ZN7rocprim17ROCPRIM_400000_NS6detail17trampoline_kernelINS0_14default_configENS1_22reduce_config_selectorIN6thrust23THRUST_200600_302600_NS5tupleIbffNS6_9null_typeES8_S8_S8_S8_S8_S8_EEEEZNS1_11reduce_implILb1ES3_NS6_11hip_rocprim26transform_input_iterator_tIS9_NS6_12zip_iteratorINS7_INS6_17counting_iteratorIiNS6_11use_defaultESG_SG_EENS6_6detail15normal_iteratorINS6_10device_ptrIfEEEES8_S8_S8_S8_S8_S8_S8_S8_EEEE15transform_tupleIifEEEPS9_S9_12reduce_tupleIifEEE10hipError_tPvRmT1_T2_T3_mT4_P12ihipStream_tbEUlT_E1_NS1_11comp_targetILNS1_3genE8ELNS1_11target_archE1030ELNS1_3gpuE2ELNS1_3repE0EEENS1_30default_config_static_selectorELNS0_4arch9wavefront6targetE1EEEvSY_.has_recursion, 0
	.set _ZN7rocprim17ROCPRIM_400000_NS6detail17trampoline_kernelINS0_14default_configENS1_22reduce_config_selectorIN6thrust23THRUST_200600_302600_NS5tupleIbffNS6_9null_typeES8_S8_S8_S8_S8_S8_EEEEZNS1_11reduce_implILb1ES3_NS6_11hip_rocprim26transform_input_iterator_tIS9_NS6_12zip_iteratorINS7_INS6_17counting_iteratorIiNS6_11use_defaultESG_SG_EENS6_6detail15normal_iteratorINS6_10device_ptrIfEEEES8_S8_S8_S8_S8_S8_S8_S8_EEEE15transform_tupleIifEEEPS9_S9_12reduce_tupleIifEEE10hipError_tPvRmT1_T2_T3_mT4_P12ihipStream_tbEUlT_E1_NS1_11comp_targetILNS1_3genE8ELNS1_11target_archE1030ELNS1_3gpuE2ELNS1_3repE0EEENS1_30default_config_static_selectorELNS0_4arch9wavefront6targetE1EEEvSY_.has_indirect_call, 0
	.section	.AMDGPU.csdata,"",@progbits
; Kernel info:
; codeLenInByte = 0
; TotalNumSgprs: 4
; NumVgprs: 0
; ScratchSize: 0
; MemoryBound: 0
; FloatMode: 240
; IeeeMode: 1
; LDSByteSize: 0 bytes/workgroup (compile time only)
; SGPRBlocks: 0
; VGPRBlocks: 0
; NumSGPRsForWavesPerEU: 4
; NumVGPRsForWavesPerEU: 1
; Occupancy: 10
; WaveLimiterHint : 0
; COMPUTE_PGM_RSRC2:SCRATCH_EN: 0
; COMPUTE_PGM_RSRC2:USER_SGPR: 6
; COMPUTE_PGM_RSRC2:TRAP_HANDLER: 0
; COMPUTE_PGM_RSRC2:TGID_X_EN: 1
; COMPUTE_PGM_RSRC2:TGID_Y_EN: 0
; COMPUTE_PGM_RSRC2:TGID_Z_EN: 0
; COMPUTE_PGM_RSRC2:TIDIG_COMP_CNT: 0
	.section	.text._ZN6thrust23THRUST_200600_302600_NS11hip_rocprim14__parallel_for6kernelILj256ENS1_10for_each_fINS0_7pointerINS0_5tupleIbffNS0_9null_typeES7_S7_S7_S7_S7_S7_EENS1_3tagENS0_11use_defaultESA_EENS0_6detail16wrapped_functionINSC_23allocator_traits_detail24construct1_via_allocatorINSC_18no_throw_allocatorINSC_19temporary_allocatorIS8_S9_EEEEEEvEEEEmLj1EEEvT0_T1_SO_,"axG",@progbits,_ZN6thrust23THRUST_200600_302600_NS11hip_rocprim14__parallel_for6kernelILj256ENS1_10for_each_fINS0_7pointerINS0_5tupleIbffNS0_9null_typeES7_S7_S7_S7_S7_S7_EENS1_3tagENS0_11use_defaultESA_EENS0_6detail16wrapped_functionINSC_23allocator_traits_detail24construct1_via_allocatorINSC_18no_throw_allocatorINSC_19temporary_allocatorIS8_S9_EEEEEEvEEEEmLj1EEEvT0_T1_SO_,comdat
	.protected	_ZN6thrust23THRUST_200600_302600_NS11hip_rocprim14__parallel_for6kernelILj256ENS1_10for_each_fINS0_7pointerINS0_5tupleIbffNS0_9null_typeES7_S7_S7_S7_S7_S7_EENS1_3tagENS0_11use_defaultESA_EENS0_6detail16wrapped_functionINSC_23allocator_traits_detail24construct1_via_allocatorINSC_18no_throw_allocatorINSC_19temporary_allocatorIS8_S9_EEEEEEvEEEEmLj1EEEvT0_T1_SO_ ; -- Begin function _ZN6thrust23THRUST_200600_302600_NS11hip_rocprim14__parallel_for6kernelILj256ENS1_10for_each_fINS0_7pointerINS0_5tupleIbffNS0_9null_typeES7_S7_S7_S7_S7_S7_EENS1_3tagENS0_11use_defaultESA_EENS0_6detail16wrapped_functionINSC_23allocator_traits_detail24construct1_via_allocatorINSC_18no_throw_allocatorINSC_19temporary_allocatorIS8_S9_EEEEEEvEEEEmLj1EEEvT0_T1_SO_
	.globl	_ZN6thrust23THRUST_200600_302600_NS11hip_rocprim14__parallel_for6kernelILj256ENS1_10for_each_fINS0_7pointerINS0_5tupleIbffNS0_9null_typeES7_S7_S7_S7_S7_S7_EENS1_3tagENS0_11use_defaultESA_EENS0_6detail16wrapped_functionINSC_23allocator_traits_detail24construct1_via_allocatorINSC_18no_throw_allocatorINSC_19temporary_allocatorIS8_S9_EEEEEEvEEEEmLj1EEEvT0_T1_SO_
	.p2align	8
	.type	_ZN6thrust23THRUST_200600_302600_NS11hip_rocprim14__parallel_for6kernelILj256ENS1_10for_each_fINS0_7pointerINS0_5tupleIbffNS0_9null_typeES7_S7_S7_S7_S7_S7_EENS1_3tagENS0_11use_defaultESA_EENS0_6detail16wrapped_functionINSC_23allocator_traits_detail24construct1_via_allocatorINSC_18no_throw_allocatorINSC_19temporary_allocatorIS8_S9_EEEEEEvEEEEmLj1EEEvT0_T1_SO_,@function
_ZN6thrust23THRUST_200600_302600_NS11hip_rocprim14__parallel_for6kernelILj256ENS1_10for_each_fINS0_7pointerINS0_5tupleIbffNS0_9null_typeES7_S7_S7_S7_S7_S7_EENS1_3tagENS0_11use_defaultESA_EENS0_6detail16wrapped_functionINSC_23allocator_traits_detail24construct1_via_allocatorINSC_18no_throw_allocatorINSC_19temporary_allocatorIS8_S9_EEEEEEvEEEEmLj1EEEvT0_T1_SO_: ; @_ZN6thrust23THRUST_200600_302600_NS11hip_rocprim14__parallel_for6kernelILj256ENS1_10for_each_fINS0_7pointerINS0_5tupleIbffNS0_9null_typeES7_S7_S7_S7_S7_S7_EENS1_3tagENS0_11use_defaultESA_EENS0_6detail16wrapped_functionINSC_23allocator_traits_detail24construct1_via_allocatorINSC_18no_throw_allocatorINSC_19temporary_allocatorIS8_S9_EEEEEEvEEEEmLj1EEEvT0_T1_SO_
; %bb.0:
	s_load_dwordx4 s[8:11], s[4:5], 0x10
	s_load_dwordx2 s[0:1], s[4:5], 0x0
	s_lshl_b32 s2, s6, 8
	v_mov_b32_e32 v1, 0xff
	v_mov_b32_e32 v2, 0
	s_waitcnt lgkmcnt(0)
	s_add_u32 s6, s10, s2
	s_addc_u32 s7, s11, 0
	s_sub_u32 s2, s8, s6
	s_subb_u32 s3, s9, s7
	v_cmp_gt_u64_e32 vcc, s[2:3], v[1:2]
	s_mov_b64 s[4:5], -1
	s_cbranch_vccz .LBB37_3
; %bb.1:
	s_andn2_b64 vcc, exec, s[4:5]
	s_cbranch_vccz .LBB37_6
.LBB37_2:
	s_endpgm
.LBB37_3:
	v_cmp_gt_u32_e32 vcc, s2, v0
	s_and_saveexec_b64 s[2:3], vcc
	s_cbranch_execz .LBB37_5
; %bb.4:
	s_mul_i32 s4, s7, 12
	s_mul_hi_u32 s5, s6, 12
	s_add_i32 s5, s5, s4
	s_mul_i32 s4, s6, 12
	s_add_u32 s4, s0, s4
	s_addc_u32 s5, s1, s5
	v_mad_u64_u32 v[1:2], s[4:5], v0, 12, s[4:5]
	v_mov_b32_e32 v3, 0
	v_mov_b32_e32 v4, v3
	flat_store_byte v[1:2], v3
	flat_store_dwordx2 v[1:2], v[3:4] offset:4
.LBB37_5:
	s_or_b64 exec, exec, s[2:3]
	s_cbranch_execnz .LBB37_2
.LBB37_6:
	s_mul_i32 s7, s7, 12
	s_mul_hi_u32 s2, s6, 12
	s_add_i32 s2, s2, s7
	s_mul_i32 s6, s6, 12
	s_add_u32 s0, s0, s6
	s_addc_u32 s1, s1, s2
	v_mad_u64_u32 v[0:1], s[0:1], v0, 12, s[0:1]
	v_mov_b32_e32 v2, 0
	v_mov_b32_e32 v3, v2
	flat_store_byte v[0:1], v2
	flat_store_dwordx2 v[0:1], v[2:3] offset:4
	s_endpgm
	.section	.rodata,"a",@progbits
	.p2align	6, 0x0
	.amdhsa_kernel _ZN6thrust23THRUST_200600_302600_NS11hip_rocprim14__parallel_for6kernelILj256ENS1_10for_each_fINS0_7pointerINS0_5tupleIbffNS0_9null_typeES7_S7_S7_S7_S7_S7_EENS1_3tagENS0_11use_defaultESA_EENS0_6detail16wrapped_functionINSC_23allocator_traits_detail24construct1_via_allocatorINSC_18no_throw_allocatorINSC_19temporary_allocatorIS8_S9_EEEEEEvEEEEmLj1EEEvT0_T1_SO_
		.amdhsa_group_segment_fixed_size 0
		.amdhsa_private_segment_fixed_size 0
		.amdhsa_kernarg_size 32
		.amdhsa_user_sgpr_count 6
		.amdhsa_user_sgpr_private_segment_buffer 1
		.amdhsa_user_sgpr_dispatch_ptr 0
		.amdhsa_user_sgpr_queue_ptr 0
		.amdhsa_user_sgpr_kernarg_segment_ptr 1
		.amdhsa_user_sgpr_dispatch_id 0
		.amdhsa_user_sgpr_flat_scratch_init 0
		.amdhsa_user_sgpr_private_segment_size 0
		.amdhsa_uses_dynamic_stack 0
		.amdhsa_system_sgpr_private_segment_wavefront_offset 0
		.amdhsa_system_sgpr_workgroup_id_x 1
		.amdhsa_system_sgpr_workgroup_id_y 0
		.amdhsa_system_sgpr_workgroup_id_z 0
		.amdhsa_system_sgpr_workgroup_info 0
		.amdhsa_system_vgpr_workitem_id 0
		.amdhsa_next_free_vgpr 5
		.amdhsa_next_free_sgpr 12
		.amdhsa_reserve_vcc 1
		.amdhsa_reserve_flat_scratch 0
		.amdhsa_float_round_mode_32 0
		.amdhsa_float_round_mode_16_64 0
		.amdhsa_float_denorm_mode_32 3
		.amdhsa_float_denorm_mode_16_64 3
		.amdhsa_dx10_clamp 1
		.amdhsa_ieee_mode 1
		.amdhsa_fp16_overflow 0
		.amdhsa_exception_fp_ieee_invalid_op 0
		.amdhsa_exception_fp_denorm_src 0
		.amdhsa_exception_fp_ieee_div_zero 0
		.amdhsa_exception_fp_ieee_overflow 0
		.amdhsa_exception_fp_ieee_underflow 0
		.amdhsa_exception_fp_ieee_inexact 0
		.amdhsa_exception_int_div_zero 0
	.end_amdhsa_kernel
	.section	.text._ZN6thrust23THRUST_200600_302600_NS11hip_rocprim14__parallel_for6kernelILj256ENS1_10for_each_fINS0_7pointerINS0_5tupleIbffNS0_9null_typeES7_S7_S7_S7_S7_S7_EENS1_3tagENS0_11use_defaultESA_EENS0_6detail16wrapped_functionINSC_23allocator_traits_detail24construct1_via_allocatorINSC_18no_throw_allocatorINSC_19temporary_allocatorIS8_S9_EEEEEEvEEEEmLj1EEEvT0_T1_SO_,"axG",@progbits,_ZN6thrust23THRUST_200600_302600_NS11hip_rocprim14__parallel_for6kernelILj256ENS1_10for_each_fINS0_7pointerINS0_5tupleIbffNS0_9null_typeES7_S7_S7_S7_S7_S7_EENS1_3tagENS0_11use_defaultESA_EENS0_6detail16wrapped_functionINSC_23allocator_traits_detail24construct1_via_allocatorINSC_18no_throw_allocatorINSC_19temporary_allocatorIS8_S9_EEEEEEvEEEEmLj1EEEvT0_T1_SO_,comdat
.Lfunc_end37:
	.size	_ZN6thrust23THRUST_200600_302600_NS11hip_rocprim14__parallel_for6kernelILj256ENS1_10for_each_fINS0_7pointerINS0_5tupleIbffNS0_9null_typeES7_S7_S7_S7_S7_S7_EENS1_3tagENS0_11use_defaultESA_EENS0_6detail16wrapped_functionINSC_23allocator_traits_detail24construct1_via_allocatorINSC_18no_throw_allocatorINSC_19temporary_allocatorIS8_S9_EEEEEEvEEEEmLj1EEEvT0_T1_SO_, .Lfunc_end37-_ZN6thrust23THRUST_200600_302600_NS11hip_rocprim14__parallel_for6kernelILj256ENS1_10for_each_fINS0_7pointerINS0_5tupleIbffNS0_9null_typeES7_S7_S7_S7_S7_S7_EENS1_3tagENS0_11use_defaultESA_EENS0_6detail16wrapped_functionINSC_23allocator_traits_detail24construct1_via_allocatorINSC_18no_throw_allocatorINSC_19temporary_allocatorIS8_S9_EEEEEEvEEEEmLj1EEEvT0_T1_SO_
                                        ; -- End function
	.set _ZN6thrust23THRUST_200600_302600_NS11hip_rocprim14__parallel_for6kernelILj256ENS1_10for_each_fINS0_7pointerINS0_5tupleIbffNS0_9null_typeES7_S7_S7_S7_S7_S7_EENS1_3tagENS0_11use_defaultESA_EENS0_6detail16wrapped_functionINSC_23allocator_traits_detail24construct1_via_allocatorINSC_18no_throw_allocatorINSC_19temporary_allocatorIS8_S9_EEEEEEvEEEEmLj1EEEvT0_T1_SO_.num_vgpr, 5
	.set _ZN6thrust23THRUST_200600_302600_NS11hip_rocprim14__parallel_for6kernelILj256ENS1_10for_each_fINS0_7pointerINS0_5tupleIbffNS0_9null_typeES7_S7_S7_S7_S7_S7_EENS1_3tagENS0_11use_defaultESA_EENS0_6detail16wrapped_functionINSC_23allocator_traits_detail24construct1_via_allocatorINSC_18no_throw_allocatorINSC_19temporary_allocatorIS8_S9_EEEEEEvEEEEmLj1EEEvT0_T1_SO_.num_agpr, 0
	.set _ZN6thrust23THRUST_200600_302600_NS11hip_rocprim14__parallel_for6kernelILj256ENS1_10for_each_fINS0_7pointerINS0_5tupleIbffNS0_9null_typeES7_S7_S7_S7_S7_S7_EENS1_3tagENS0_11use_defaultESA_EENS0_6detail16wrapped_functionINSC_23allocator_traits_detail24construct1_via_allocatorINSC_18no_throw_allocatorINSC_19temporary_allocatorIS8_S9_EEEEEEvEEEEmLj1EEEvT0_T1_SO_.numbered_sgpr, 12
	.set _ZN6thrust23THRUST_200600_302600_NS11hip_rocprim14__parallel_for6kernelILj256ENS1_10for_each_fINS0_7pointerINS0_5tupleIbffNS0_9null_typeES7_S7_S7_S7_S7_S7_EENS1_3tagENS0_11use_defaultESA_EENS0_6detail16wrapped_functionINSC_23allocator_traits_detail24construct1_via_allocatorINSC_18no_throw_allocatorINSC_19temporary_allocatorIS8_S9_EEEEEEvEEEEmLj1EEEvT0_T1_SO_.num_named_barrier, 0
	.set _ZN6thrust23THRUST_200600_302600_NS11hip_rocprim14__parallel_for6kernelILj256ENS1_10for_each_fINS0_7pointerINS0_5tupleIbffNS0_9null_typeES7_S7_S7_S7_S7_S7_EENS1_3tagENS0_11use_defaultESA_EENS0_6detail16wrapped_functionINSC_23allocator_traits_detail24construct1_via_allocatorINSC_18no_throw_allocatorINSC_19temporary_allocatorIS8_S9_EEEEEEvEEEEmLj1EEEvT0_T1_SO_.private_seg_size, 0
	.set _ZN6thrust23THRUST_200600_302600_NS11hip_rocprim14__parallel_for6kernelILj256ENS1_10for_each_fINS0_7pointerINS0_5tupleIbffNS0_9null_typeES7_S7_S7_S7_S7_S7_EENS1_3tagENS0_11use_defaultESA_EENS0_6detail16wrapped_functionINSC_23allocator_traits_detail24construct1_via_allocatorINSC_18no_throw_allocatorINSC_19temporary_allocatorIS8_S9_EEEEEEvEEEEmLj1EEEvT0_T1_SO_.uses_vcc, 1
	.set _ZN6thrust23THRUST_200600_302600_NS11hip_rocprim14__parallel_for6kernelILj256ENS1_10for_each_fINS0_7pointerINS0_5tupleIbffNS0_9null_typeES7_S7_S7_S7_S7_S7_EENS1_3tagENS0_11use_defaultESA_EENS0_6detail16wrapped_functionINSC_23allocator_traits_detail24construct1_via_allocatorINSC_18no_throw_allocatorINSC_19temporary_allocatorIS8_S9_EEEEEEvEEEEmLj1EEEvT0_T1_SO_.uses_flat_scratch, 0
	.set _ZN6thrust23THRUST_200600_302600_NS11hip_rocprim14__parallel_for6kernelILj256ENS1_10for_each_fINS0_7pointerINS0_5tupleIbffNS0_9null_typeES7_S7_S7_S7_S7_S7_EENS1_3tagENS0_11use_defaultESA_EENS0_6detail16wrapped_functionINSC_23allocator_traits_detail24construct1_via_allocatorINSC_18no_throw_allocatorINSC_19temporary_allocatorIS8_S9_EEEEEEvEEEEmLj1EEEvT0_T1_SO_.has_dyn_sized_stack, 0
	.set _ZN6thrust23THRUST_200600_302600_NS11hip_rocprim14__parallel_for6kernelILj256ENS1_10for_each_fINS0_7pointerINS0_5tupleIbffNS0_9null_typeES7_S7_S7_S7_S7_S7_EENS1_3tagENS0_11use_defaultESA_EENS0_6detail16wrapped_functionINSC_23allocator_traits_detail24construct1_via_allocatorINSC_18no_throw_allocatorINSC_19temporary_allocatorIS8_S9_EEEEEEvEEEEmLj1EEEvT0_T1_SO_.has_recursion, 0
	.set _ZN6thrust23THRUST_200600_302600_NS11hip_rocprim14__parallel_for6kernelILj256ENS1_10for_each_fINS0_7pointerINS0_5tupleIbffNS0_9null_typeES7_S7_S7_S7_S7_S7_EENS1_3tagENS0_11use_defaultESA_EENS0_6detail16wrapped_functionINSC_23allocator_traits_detail24construct1_via_allocatorINSC_18no_throw_allocatorINSC_19temporary_allocatorIS8_S9_EEEEEEvEEEEmLj1EEEvT0_T1_SO_.has_indirect_call, 0
	.section	.AMDGPU.csdata,"",@progbits
; Kernel info:
; codeLenInByte = 212
; TotalNumSgprs: 16
; NumVgprs: 5
; ScratchSize: 0
; MemoryBound: 0
; FloatMode: 240
; IeeeMode: 1
; LDSByteSize: 0 bytes/workgroup (compile time only)
; SGPRBlocks: 1
; VGPRBlocks: 1
; NumSGPRsForWavesPerEU: 16
; NumVGPRsForWavesPerEU: 5
; Occupancy: 10
; WaveLimiterHint : 0
; COMPUTE_PGM_RSRC2:SCRATCH_EN: 0
; COMPUTE_PGM_RSRC2:USER_SGPR: 6
; COMPUTE_PGM_RSRC2:TRAP_HANDLER: 0
; COMPUTE_PGM_RSRC2:TGID_X_EN: 1
; COMPUTE_PGM_RSRC2:TGID_Y_EN: 0
; COMPUTE_PGM_RSRC2:TGID_Z_EN: 0
; COMPUTE_PGM_RSRC2:TIDIG_COMP_CNT: 0
	.section	.text._ZN6thrust23THRUST_200600_302600_NS11hip_rocprim14__parallel_for6kernelILj256ENS1_10for_each_fINS0_7pointerINS0_5tupleIbffNS0_9null_typeES7_S7_S7_S7_S7_S7_EENS1_3tagENS0_11use_defaultESA_EENS0_6detail16wrapped_functionINSC_23allocator_traits_detail5gozerEvEEEElLj1EEEvT0_T1_SJ_,"axG",@progbits,_ZN6thrust23THRUST_200600_302600_NS11hip_rocprim14__parallel_for6kernelILj256ENS1_10for_each_fINS0_7pointerINS0_5tupleIbffNS0_9null_typeES7_S7_S7_S7_S7_S7_EENS1_3tagENS0_11use_defaultESA_EENS0_6detail16wrapped_functionINSC_23allocator_traits_detail5gozerEvEEEElLj1EEEvT0_T1_SJ_,comdat
	.protected	_ZN6thrust23THRUST_200600_302600_NS11hip_rocprim14__parallel_for6kernelILj256ENS1_10for_each_fINS0_7pointerINS0_5tupleIbffNS0_9null_typeES7_S7_S7_S7_S7_S7_EENS1_3tagENS0_11use_defaultESA_EENS0_6detail16wrapped_functionINSC_23allocator_traits_detail5gozerEvEEEElLj1EEEvT0_T1_SJ_ ; -- Begin function _ZN6thrust23THRUST_200600_302600_NS11hip_rocprim14__parallel_for6kernelILj256ENS1_10for_each_fINS0_7pointerINS0_5tupleIbffNS0_9null_typeES7_S7_S7_S7_S7_S7_EENS1_3tagENS0_11use_defaultESA_EENS0_6detail16wrapped_functionINSC_23allocator_traits_detail5gozerEvEEEElLj1EEEvT0_T1_SJ_
	.globl	_ZN6thrust23THRUST_200600_302600_NS11hip_rocprim14__parallel_for6kernelILj256ENS1_10for_each_fINS0_7pointerINS0_5tupleIbffNS0_9null_typeES7_S7_S7_S7_S7_S7_EENS1_3tagENS0_11use_defaultESA_EENS0_6detail16wrapped_functionINSC_23allocator_traits_detail5gozerEvEEEElLj1EEEvT0_T1_SJ_
	.p2align	8
	.type	_ZN6thrust23THRUST_200600_302600_NS11hip_rocprim14__parallel_for6kernelILj256ENS1_10for_each_fINS0_7pointerINS0_5tupleIbffNS0_9null_typeES7_S7_S7_S7_S7_S7_EENS1_3tagENS0_11use_defaultESA_EENS0_6detail16wrapped_functionINSC_23allocator_traits_detail5gozerEvEEEElLj1EEEvT0_T1_SJ_,@function
_ZN6thrust23THRUST_200600_302600_NS11hip_rocprim14__parallel_for6kernelILj256ENS1_10for_each_fINS0_7pointerINS0_5tupleIbffNS0_9null_typeES7_S7_S7_S7_S7_S7_EENS1_3tagENS0_11use_defaultESA_EENS0_6detail16wrapped_functionINSC_23allocator_traits_detail5gozerEvEEEElLj1EEEvT0_T1_SJ_: ; @_ZN6thrust23THRUST_200600_302600_NS11hip_rocprim14__parallel_for6kernelILj256ENS1_10for_each_fINS0_7pointerINS0_5tupleIbffNS0_9null_typeES7_S7_S7_S7_S7_S7_EENS1_3tagENS0_11use_defaultESA_EENS0_6detail16wrapped_functionINSC_23allocator_traits_detail5gozerEvEEEElLj1EEEvT0_T1_SJ_
; %bb.0:
	s_endpgm
	.section	.rodata,"a",@progbits
	.p2align	6, 0x0
	.amdhsa_kernel _ZN6thrust23THRUST_200600_302600_NS11hip_rocprim14__parallel_for6kernelILj256ENS1_10for_each_fINS0_7pointerINS0_5tupleIbffNS0_9null_typeES7_S7_S7_S7_S7_S7_EENS1_3tagENS0_11use_defaultESA_EENS0_6detail16wrapped_functionINSC_23allocator_traits_detail5gozerEvEEEElLj1EEEvT0_T1_SJ_
		.amdhsa_group_segment_fixed_size 0
		.amdhsa_private_segment_fixed_size 0
		.amdhsa_kernarg_size 32
		.amdhsa_user_sgpr_count 6
		.amdhsa_user_sgpr_private_segment_buffer 1
		.amdhsa_user_sgpr_dispatch_ptr 0
		.amdhsa_user_sgpr_queue_ptr 0
		.amdhsa_user_sgpr_kernarg_segment_ptr 1
		.amdhsa_user_sgpr_dispatch_id 0
		.amdhsa_user_sgpr_flat_scratch_init 0
		.amdhsa_user_sgpr_private_segment_size 0
		.amdhsa_uses_dynamic_stack 0
		.amdhsa_system_sgpr_private_segment_wavefront_offset 0
		.amdhsa_system_sgpr_workgroup_id_x 1
		.amdhsa_system_sgpr_workgroup_id_y 0
		.amdhsa_system_sgpr_workgroup_id_z 0
		.amdhsa_system_sgpr_workgroup_info 0
		.amdhsa_system_vgpr_workitem_id 0
		.amdhsa_next_free_vgpr 1
		.amdhsa_next_free_sgpr 0
		.amdhsa_reserve_vcc 0
		.amdhsa_reserve_flat_scratch 0
		.amdhsa_float_round_mode_32 0
		.amdhsa_float_round_mode_16_64 0
		.amdhsa_float_denorm_mode_32 3
		.amdhsa_float_denorm_mode_16_64 3
		.amdhsa_dx10_clamp 1
		.amdhsa_ieee_mode 1
		.amdhsa_fp16_overflow 0
		.amdhsa_exception_fp_ieee_invalid_op 0
		.amdhsa_exception_fp_denorm_src 0
		.amdhsa_exception_fp_ieee_div_zero 0
		.amdhsa_exception_fp_ieee_overflow 0
		.amdhsa_exception_fp_ieee_underflow 0
		.amdhsa_exception_fp_ieee_inexact 0
		.amdhsa_exception_int_div_zero 0
	.end_amdhsa_kernel
	.section	.text._ZN6thrust23THRUST_200600_302600_NS11hip_rocprim14__parallel_for6kernelILj256ENS1_10for_each_fINS0_7pointerINS0_5tupleIbffNS0_9null_typeES7_S7_S7_S7_S7_S7_EENS1_3tagENS0_11use_defaultESA_EENS0_6detail16wrapped_functionINSC_23allocator_traits_detail5gozerEvEEEElLj1EEEvT0_T1_SJ_,"axG",@progbits,_ZN6thrust23THRUST_200600_302600_NS11hip_rocprim14__parallel_for6kernelILj256ENS1_10for_each_fINS0_7pointerINS0_5tupleIbffNS0_9null_typeES7_S7_S7_S7_S7_S7_EENS1_3tagENS0_11use_defaultESA_EENS0_6detail16wrapped_functionINSC_23allocator_traits_detail5gozerEvEEEElLj1EEEvT0_T1_SJ_,comdat
.Lfunc_end38:
	.size	_ZN6thrust23THRUST_200600_302600_NS11hip_rocprim14__parallel_for6kernelILj256ENS1_10for_each_fINS0_7pointerINS0_5tupleIbffNS0_9null_typeES7_S7_S7_S7_S7_S7_EENS1_3tagENS0_11use_defaultESA_EENS0_6detail16wrapped_functionINSC_23allocator_traits_detail5gozerEvEEEElLj1EEEvT0_T1_SJ_, .Lfunc_end38-_ZN6thrust23THRUST_200600_302600_NS11hip_rocprim14__parallel_for6kernelILj256ENS1_10for_each_fINS0_7pointerINS0_5tupleIbffNS0_9null_typeES7_S7_S7_S7_S7_S7_EENS1_3tagENS0_11use_defaultESA_EENS0_6detail16wrapped_functionINSC_23allocator_traits_detail5gozerEvEEEElLj1EEEvT0_T1_SJ_
                                        ; -- End function
	.set _ZN6thrust23THRUST_200600_302600_NS11hip_rocprim14__parallel_for6kernelILj256ENS1_10for_each_fINS0_7pointerINS0_5tupleIbffNS0_9null_typeES7_S7_S7_S7_S7_S7_EENS1_3tagENS0_11use_defaultESA_EENS0_6detail16wrapped_functionINSC_23allocator_traits_detail5gozerEvEEEElLj1EEEvT0_T1_SJ_.num_vgpr, 0
	.set _ZN6thrust23THRUST_200600_302600_NS11hip_rocprim14__parallel_for6kernelILj256ENS1_10for_each_fINS0_7pointerINS0_5tupleIbffNS0_9null_typeES7_S7_S7_S7_S7_S7_EENS1_3tagENS0_11use_defaultESA_EENS0_6detail16wrapped_functionINSC_23allocator_traits_detail5gozerEvEEEElLj1EEEvT0_T1_SJ_.num_agpr, 0
	.set _ZN6thrust23THRUST_200600_302600_NS11hip_rocprim14__parallel_for6kernelILj256ENS1_10for_each_fINS0_7pointerINS0_5tupleIbffNS0_9null_typeES7_S7_S7_S7_S7_S7_EENS1_3tagENS0_11use_defaultESA_EENS0_6detail16wrapped_functionINSC_23allocator_traits_detail5gozerEvEEEElLj1EEEvT0_T1_SJ_.numbered_sgpr, 0
	.set _ZN6thrust23THRUST_200600_302600_NS11hip_rocprim14__parallel_for6kernelILj256ENS1_10for_each_fINS0_7pointerINS0_5tupleIbffNS0_9null_typeES7_S7_S7_S7_S7_S7_EENS1_3tagENS0_11use_defaultESA_EENS0_6detail16wrapped_functionINSC_23allocator_traits_detail5gozerEvEEEElLj1EEEvT0_T1_SJ_.num_named_barrier, 0
	.set _ZN6thrust23THRUST_200600_302600_NS11hip_rocprim14__parallel_for6kernelILj256ENS1_10for_each_fINS0_7pointerINS0_5tupleIbffNS0_9null_typeES7_S7_S7_S7_S7_S7_EENS1_3tagENS0_11use_defaultESA_EENS0_6detail16wrapped_functionINSC_23allocator_traits_detail5gozerEvEEEElLj1EEEvT0_T1_SJ_.private_seg_size, 0
	.set _ZN6thrust23THRUST_200600_302600_NS11hip_rocprim14__parallel_for6kernelILj256ENS1_10for_each_fINS0_7pointerINS0_5tupleIbffNS0_9null_typeES7_S7_S7_S7_S7_S7_EENS1_3tagENS0_11use_defaultESA_EENS0_6detail16wrapped_functionINSC_23allocator_traits_detail5gozerEvEEEElLj1EEEvT0_T1_SJ_.uses_vcc, 0
	.set _ZN6thrust23THRUST_200600_302600_NS11hip_rocprim14__parallel_for6kernelILj256ENS1_10for_each_fINS0_7pointerINS0_5tupleIbffNS0_9null_typeES7_S7_S7_S7_S7_S7_EENS1_3tagENS0_11use_defaultESA_EENS0_6detail16wrapped_functionINSC_23allocator_traits_detail5gozerEvEEEElLj1EEEvT0_T1_SJ_.uses_flat_scratch, 0
	.set _ZN6thrust23THRUST_200600_302600_NS11hip_rocprim14__parallel_for6kernelILj256ENS1_10for_each_fINS0_7pointerINS0_5tupleIbffNS0_9null_typeES7_S7_S7_S7_S7_S7_EENS1_3tagENS0_11use_defaultESA_EENS0_6detail16wrapped_functionINSC_23allocator_traits_detail5gozerEvEEEElLj1EEEvT0_T1_SJ_.has_dyn_sized_stack, 0
	.set _ZN6thrust23THRUST_200600_302600_NS11hip_rocprim14__parallel_for6kernelILj256ENS1_10for_each_fINS0_7pointerINS0_5tupleIbffNS0_9null_typeES7_S7_S7_S7_S7_S7_EENS1_3tagENS0_11use_defaultESA_EENS0_6detail16wrapped_functionINSC_23allocator_traits_detail5gozerEvEEEElLj1EEEvT0_T1_SJ_.has_recursion, 0
	.set _ZN6thrust23THRUST_200600_302600_NS11hip_rocprim14__parallel_for6kernelILj256ENS1_10for_each_fINS0_7pointerINS0_5tupleIbffNS0_9null_typeES7_S7_S7_S7_S7_S7_EENS1_3tagENS0_11use_defaultESA_EENS0_6detail16wrapped_functionINSC_23allocator_traits_detail5gozerEvEEEElLj1EEEvT0_T1_SJ_.has_indirect_call, 0
	.section	.AMDGPU.csdata,"",@progbits
; Kernel info:
; codeLenInByte = 4
; TotalNumSgprs: 4
; NumVgprs: 0
; ScratchSize: 0
; MemoryBound: 0
; FloatMode: 240
; IeeeMode: 1
; LDSByteSize: 0 bytes/workgroup (compile time only)
; SGPRBlocks: 0
; VGPRBlocks: 0
; NumSGPRsForWavesPerEU: 4
; NumVGPRsForWavesPerEU: 1
; Occupancy: 10
; WaveLimiterHint : 0
; COMPUTE_PGM_RSRC2:SCRATCH_EN: 0
; COMPUTE_PGM_RSRC2:USER_SGPR: 6
; COMPUTE_PGM_RSRC2:TRAP_HANDLER: 0
; COMPUTE_PGM_RSRC2:TGID_X_EN: 1
; COMPUTE_PGM_RSRC2:TGID_Y_EN: 0
; COMPUTE_PGM_RSRC2:TGID_Z_EN: 0
; COMPUTE_PGM_RSRC2:TIDIG_COMP_CNT: 0
	.section	.text._ZN6thrust23THRUST_200600_302600_NS11hip_rocprim14__parallel_for6kernelILj256ENS1_20__uninitialized_copy7functorIPNS0_5tupleIbffNS0_9null_typeES7_S7_S7_S7_S7_S7_EENS0_7pointerIS8_NS1_3tagENS0_11use_defaultESC_EEEEmLj1EEEvT0_T1_SG_,"axG",@progbits,_ZN6thrust23THRUST_200600_302600_NS11hip_rocprim14__parallel_for6kernelILj256ENS1_20__uninitialized_copy7functorIPNS0_5tupleIbffNS0_9null_typeES7_S7_S7_S7_S7_S7_EENS0_7pointerIS8_NS1_3tagENS0_11use_defaultESC_EEEEmLj1EEEvT0_T1_SG_,comdat
	.protected	_ZN6thrust23THRUST_200600_302600_NS11hip_rocprim14__parallel_for6kernelILj256ENS1_20__uninitialized_copy7functorIPNS0_5tupleIbffNS0_9null_typeES7_S7_S7_S7_S7_S7_EENS0_7pointerIS8_NS1_3tagENS0_11use_defaultESC_EEEEmLj1EEEvT0_T1_SG_ ; -- Begin function _ZN6thrust23THRUST_200600_302600_NS11hip_rocprim14__parallel_for6kernelILj256ENS1_20__uninitialized_copy7functorIPNS0_5tupleIbffNS0_9null_typeES7_S7_S7_S7_S7_S7_EENS0_7pointerIS8_NS1_3tagENS0_11use_defaultESC_EEEEmLj1EEEvT0_T1_SG_
	.globl	_ZN6thrust23THRUST_200600_302600_NS11hip_rocprim14__parallel_for6kernelILj256ENS1_20__uninitialized_copy7functorIPNS0_5tupleIbffNS0_9null_typeES7_S7_S7_S7_S7_S7_EENS0_7pointerIS8_NS1_3tagENS0_11use_defaultESC_EEEEmLj1EEEvT0_T1_SG_
	.p2align	8
	.type	_ZN6thrust23THRUST_200600_302600_NS11hip_rocprim14__parallel_for6kernelILj256ENS1_20__uninitialized_copy7functorIPNS0_5tupleIbffNS0_9null_typeES7_S7_S7_S7_S7_S7_EENS0_7pointerIS8_NS1_3tagENS0_11use_defaultESC_EEEEmLj1EEEvT0_T1_SG_,@function
_ZN6thrust23THRUST_200600_302600_NS11hip_rocprim14__parallel_for6kernelILj256ENS1_20__uninitialized_copy7functorIPNS0_5tupleIbffNS0_9null_typeES7_S7_S7_S7_S7_S7_EENS0_7pointerIS8_NS1_3tagENS0_11use_defaultESC_EEEEmLj1EEEvT0_T1_SG_: ; @_ZN6thrust23THRUST_200600_302600_NS11hip_rocprim14__parallel_for6kernelILj256ENS1_20__uninitialized_copy7functorIPNS0_5tupleIbffNS0_9null_typeES7_S7_S7_S7_S7_S7_EENS0_7pointerIS8_NS1_3tagENS0_11use_defaultESC_EEEEmLj1EEEvT0_T1_SG_
; %bb.0:
	s_load_dwordx8 s[8:15], s[4:5], 0x0
	s_lshl_b32 s0, s6, 8
	v_mov_b32_e32 v1, 0xff
	v_mov_b32_e32 v2, 0
	s_waitcnt lgkmcnt(0)
	s_add_u32 s4, s14, s0
	s_addc_u32 s5, s15, 0
	s_sub_u32 s0, s12, s4
	s_subb_u32 s1, s13, s5
	v_cmp_gt_u64_e32 vcc, s[0:1], v[1:2]
	s_cbranch_vccnz .LBB39_2
; %bb.1:
	v_cmp_gt_u32_e32 vcc, s0, v0
	s_and_b64 s[0:1], vcc, exec
	s_cbranch_execz .LBB39_3
	s_branch .LBB39_4
.LBB39_2:
	s_mov_b64 s[0:1], 0
.LBB39_3:
	s_or_b64 s[0:1], s[0:1], exec
.LBB39_4:
	s_and_saveexec_b64 s[2:3], s[0:1]
	s_cbranch_execnz .LBB39_6
; %bb.5:
	s_endpgm
.LBB39_6:
	v_mov_b32_e32 v3, s5
	v_add_co_u32_e32 v5, vcc, s4, v0
	v_mov_b32_e32 v1, s8
	v_mov_b32_e32 v2, s9
	v_addc_co_u32_e32 v3, vcc, 0, v3, vcc
	v_mad_u64_u32 v[0:1], s[0:1], v5, 12, v[1:2]
	v_mul_lo_u32 v6, v3, 12
	v_mov_b32_e32 v3, s10
	v_mov_b32_e32 v4, s11
	v_mad_u64_u32 v[3:4], s[0:1], v5, 12, v[3:4]
	v_add_u32_e32 v1, v6, v1
	global_load_dwordx3 v[0:2], v[0:1], off
	v_add_u32_e32 v4, v6, v4
	s_waitcnt vmcnt(0)
	flat_store_dwordx3 v[3:4], v[0:2]
	s_endpgm
	.section	.rodata,"a",@progbits
	.p2align	6, 0x0
	.amdhsa_kernel _ZN6thrust23THRUST_200600_302600_NS11hip_rocprim14__parallel_for6kernelILj256ENS1_20__uninitialized_copy7functorIPNS0_5tupleIbffNS0_9null_typeES7_S7_S7_S7_S7_S7_EENS0_7pointerIS8_NS1_3tagENS0_11use_defaultESC_EEEEmLj1EEEvT0_T1_SG_
		.amdhsa_group_segment_fixed_size 0
		.amdhsa_private_segment_fixed_size 0
		.amdhsa_kernarg_size 32
		.amdhsa_user_sgpr_count 6
		.amdhsa_user_sgpr_private_segment_buffer 1
		.amdhsa_user_sgpr_dispatch_ptr 0
		.amdhsa_user_sgpr_queue_ptr 0
		.amdhsa_user_sgpr_kernarg_segment_ptr 1
		.amdhsa_user_sgpr_dispatch_id 0
		.amdhsa_user_sgpr_flat_scratch_init 0
		.amdhsa_user_sgpr_private_segment_size 0
		.amdhsa_uses_dynamic_stack 0
		.amdhsa_system_sgpr_private_segment_wavefront_offset 0
		.amdhsa_system_sgpr_workgroup_id_x 1
		.amdhsa_system_sgpr_workgroup_id_y 0
		.amdhsa_system_sgpr_workgroup_id_z 0
		.amdhsa_system_sgpr_workgroup_info 0
		.amdhsa_system_vgpr_workitem_id 0
		.amdhsa_next_free_vgpr 7
		.amdhsa_next_free_sgpr 16
		.amdhsa_reserve_vcc 1
		.amdhsa_reserve_flat_scratch 0
		.amdhsa_float_round_mode_32 0
		.amdhsa_float_round_mode_16_64 0
		.amdhsa_float_denorm_mode_32 3
		.amdhsa_float_denorm_mode_16_64 3
		.amdhsa_dx10_clamp 1
		.amdhsa_ieee_mode 1
		.amdhsa_fp16_overflow 0
		.amdhsa_exception_fp_ieee_invalid_op 0
		.amdhsa_exception_fp_denorm_src 0
		.amdhsa_exception_fp_ieee_div_zero 0
		.amdhsa_exception_fp_ieee_overflow 0
		.amdhsa_exception_fp_ieee_underflow 0
		.amdhsa_exception_fp_ieee_inexact 0
		.amdhsa_exception_int_div_zero 0
	.end_amdhsa_kernel
	.section	.text._ZN6thrust23THRUST_200600_302600_NS11hip_rocprim14__parallel_for6kernelILj256ENS1_20__uninitialized_copy7functorIPNS0_5tupleIbffNS0_9null_typeES7_S7_S7_S7_S7_S7_EENS0_7pointerIS8_NS1_3tagENS0_11use_defaultESC_EEEEmLj1EEEvT0_T1_SG_,"axG",@progbits,_ZN6thrust23THRUST_200600_302600_NS11hip_rocprim14__parallel_for6kernelILj256ENS1_20__uninitialized_copy7functorIPNS0_5tupleIbffNS0_9null_typeES7_S7_S7_S7_S7_S7_EENS0_7pointerIS8_NS1_3tagENS0_11use_defaultESC_EEEEmLj1EEEvT0_T1_SG_,comdat
.Lfunc_end39:
	.size	_ZN6thrust23THRUST_200600_302600_NS11hip_rocprim14__parallel_for6kernelILj256ENS1_20__uninitialized_copy7functorIPNS0_5tupleIbffNS0_9null_typeES7_S7_S7_S7_S7_S7_EENS0_7pointerIS8_NS1_3tagENS0_11use_defaultESC_EEEEmLj1EEEvT0_T1_SG_, .Lfunc_end39-_ZN6thrust23THRUST_200600_302600_NS11hip_rocprim14__parallel_for6kernelILj256ENS1_20__uninitialized_copy7functorIPNS0_5tupleIbffNS0_9null_typeES7_S7_S7_S7_S7_S7_EENS0_7pointerIS8_NS1_3tagENS0_11use_defaultESC_EEEEmLj1EEEvT0_T1_SG_
                                        ; -- End function
	.set _ZN6thrust23THRUST_200600_302600_NS11hip_rocprim14__parallel_for6kernelILj256ENS1_20__uninitialized_copy7functorIPNS0_5tupleIbffNS0_9null_typeES7_S7_S7_S7_S7_S7_EENS0_7pointerIS8_NS1_3tagENS0_11use_defaultESC_EEEEmLj1EEEvT0_T1_SG_.num_vgpr, 7
	.set _ZN6thrust23THRUST_200600_302600_NS11hip_rocprim14__parallel_for6kernelILj256ENS1_20__uninitialized_copy7functorIPNS0_5tupleIbffNS0_9null_typeES7_S7_S7_S7_S7_S7_EENS0_7pointerIS8_NS1_3tagENS0_11use_defaultESC_EEEEmLj1EEEvT0_T1_SG_.num_agpr, 0
	.set _ZN6thrust23THRUST_200600_302600_NS11hip_rocprim14__parallel_for6kernelILj256ENS1_20__uninitialized_copy7functorIPNS0_5tupleIbffNS0_9null_typeES7_S7_S7_S7_S7_S7_EENS0_7pointerIS8_NS1_3tagENS0_11use_defaultESC_EEEEmLj1EEEvT0_T1_SG_.numbered_sgpr, 16
	.set _ZN6thrust23THRUST_200600_302600_NS11hip_rocprim14__parallel_for6kernelILj256ENS1_20__uninitialized_copy7functorIPNS0_5tupleIbffNS0_9null_typeES7_S7_S7_S7_S7_S7_EENS0_7pointerIS8_NS1_3tagENS0_11use_defaultESC_EEEEmLj1EEEvT0_T1_SG_.num_named_barrier, 0
	.set _ZN6thrust23THRUST_200600_302600_NS11hip_rocprim14__parallel_for6kernelILj256ENS1_20__uninitialized_copy7functorIPNS0_5tupleIbffNS0_9null_typeES7_S7_S7_S7_S7_S7_EENS0_7pointerIS8_NS1_3tagENS0_11use_defaultESC_EEEEmLj1EEEvT0_T1_SG_.private_seg_size, 0
	.set _ZN6thrust23THRUST_200600_302600_NS11hip_rocprim14__parallel_for6kernelILj256ENS1_20__uninitialized_copy7functorIPNS0_5tupleIbffNS0_9null_typeES7_S7_S7_S7_S7_S7_EENS0_7pointerIS8_NS1_3tagENS0_11use_defaultESC_EEEEmLj1EEEvT0_T1_SG_.uses_vcc, 1
	.set _ZN6thrust23THRUST_200600_302600_NS11hip_rocprim14__parallel_for6kernelILj256ENS1_20__uninitialized_copy7functorIPNS0_5tupleIbffNS0_9null_typeES7_S7_S7_S7_S7_S7_EENS0_7pointerIS8_NS1_3tagENS0_11use_defaultESC_EEEEmLj1EEEvT0_T1_SG_.uses_flat_scratch, 0
	.set _ZN6thrust23THRUST_200600_302600_NS11hip_rocprim14__parallel_for6kernelILj256ENS1_20__uninitialized_copy7functorIPNS0_5tupleIbffNS0_9null_typeES7_S7_S7_S7_S7_S7_EENS0_7pointerIS8_NS1_3tagENS0_11use_defaultESC_EEEEmLj1EEEvT0_T1_SG_.has_dyn_sized_stack, 0
	.set _ZN6thrust23THRUST_200600_302600_NS11hip_rocprim14__parallel_for6kernelILj256ENS1_20__uninitialized_copy7functorIPNS0_5tupleIbffNS0_9null_typeES7_S7_S7_S7_S7_S7_EENS0_7pointerIS8_NS1_3tagENS0_11use_defaultESC_EEEEmLj1EEEvT0_T1_SG_.has_recursion, 0
	.set _ZN6thrust23THRUST_200600_302600_NS11hip_rocprim14__parallel_for6kernelILj256ENS1_20__uninitialized_copy7functorIPNS0_5tupleIbffNS0_9null_typeES7_S7_S7_S7_S7_S7_EENS0_7pointerIS8_NS1_3tagENS0_11use_defaultESC_EEEEmLj1EEEvT0_T1_SG_.has_indirect_call, 0
	.section	.AMDGPU.csdata,"",@progbits
; Kernel info:
; codeLenInByte = 172
; TotalNumSgprs: 20
; NumVgprs: 7
; ScratchSize: 0
; MemoryBound: 0
; FloatMode: 240
; IeeeMode: 1
; LDSByteSize: 0 bytes/workgroup (compile time only)
; SGPRBlocks: 2
; VGPRBlocks: 1
; NumSGPRsForWavesPerEU: 20
; NumVGPRsForWavesPerEU: 7
; Occupancy: 10
; WaveLimiterHint : 0
; COMPUTE_PGM_RSRC2:SCRATCH_EN: 0
; COMPUTE_PGM_RSRC2:USER_SGPR: 6
; COMPUTE_PGM_RSRC2:TRAP_HANDLER: 0
; COMPUTE_PGM_RSRC2:TGID_X_EN: 1
; COMPUTE_PGM_RSRC2:TGID_Y_EN: 0
; COMPUTE_PGM_RSRC2:TGID_Z_EN: 0
; COMPUTE_PGM_RSRC2:TIDIG_COMP_CNT: 0
	.section	.AMDGPU.gpr_maximums,"",@progbits
	.set amdgpu.max_num_vgpr, 0
	.set amdgpu.max_num_agpr, 0
	.set amdgpu.max_num_sgpr, 0
	.section	.AMDGPU.csdata,"",@progbits
	.type	__hip_cuid_6cdd558654687843,@object ; @__hip_cuid_6cdd558654687843
	.section	.bss,"aw",@nobits
	.globl	__hip_cuid_6cdd558654687843
__hip_cuid_6cdd558654687843:
	.byte	0                               ; 0x0
	.size	__hip_cuid_6cdd558654687843, 1

	.ident	"AMD clang version 22.0.0git (https://github.com/RadeonOpenCompute/llvm-project roc-7.2.4 26084 f58b06dce1f9c15707c5f808fd002e18c2accf7e)"
	.section	".note.GNU-stack","",@progbits
	.addrsig
	.addrsig_sym __hip_cuid_6cdd558654687843
	.amdgpu_metadata
---
amdhsa.kernels:
  - .args:
      - .offset:         0
        .size:           16
        .value_kind:     by_value
      - .offset:         16
        .size:           8
        .value_kind:     by_value
      - .offset:         24
        .size:           8
        .value_kind:     by_value
    .group_segment_fixed_size: 0
    .kernarg_segment_align: 8
    .kernarg_segment_size: 32
    .language:       OpenCL C
    .language_version:
      - 2
      - 0
    .max_flat_workgroup_size: 256
    .name:           _ZN6thrust23THRUST_200600_302600_NS11hip_rocprim14__parallel_for6kernelILj256ENS1_20__uninitialized_fill7functorINS0_10device_ptrIfEEfEEmLj1EEEvT0_T1_SA_
    .private_segment_fixed_size: 0
    .sgpr_count:     20
    .sgpr_spill_count: 0
    .symbol:         _ZN6thrust23THRUST_200600_302600_NS11hip_rocprim14__parallel_for6kernelILj256ENS1_20__uninitialized_fill7functorINS0_10device_ptrIfEEfEEmLj1EEEvT0_T1_SA_.kd
    .uniform_work_group_size: 1
    .uses_dynamic_stack: false
    .vgpr_count:     4
    .vgpr_spill_count: 0
    .wavefront_size: 64
  - .args:
      - .offset:         0
        .size:           64
        .value_kind:     by_value
    .group_segment_fixed_size: 0
    .kernarg_segment_align: 8
    .kernarg_segment_size: 64
    .language:       OpenCL C
    .language_version:
      - 2
      - 0
    .max_flat_workgroup_size: 128
    .name:           _ZN7rocprim17ROCPRIM_400000_NS6detail17trampoline_kernelINS0_14default_configENS1_22reduce_config_selectorIN6thrust23THRUST_200600_302600_NS5tupleIbffNS6_9null_typeES8_S8_S8_S8_S8_S8_EEEEZNS1_11reduce_implILb1ES3_PS9_SC_S9_12reduce_tupleIifEEE10hipError_tPvRmT1_T2_T3_mT4_P12ihipStream_tbEUlT_E0_NS1_11comp_targetILNS1_3genE0ELNS1_11target_archE4294967295ELNS1_3gpuE0ELNS1_3repE0EEENS1_30default_config_static_selectorELNS0_4arch9wavefront6targetE1EEEvSI_
    .private_segment_fixed_size: 0
    .sgpr_count:     4
    .sgpr_spill_count: 0
    .symbol:         _ZN7rocprim17ROCPRIM_400000_NS6detail17trampoline_kernelINS0_14default_configENS1_22reduce_config_selectorIN6thrust23THRUST_200600_302600_NS5tupleIbffNS6_9null_typeES8_S8_S8_S8_S8_S8_EEEEZNS1_11reduce_implILb1ES3_PS9_SC_S9_12reduce_tupleIifEEE10hipError_tPvRmT1_T2_T3_mT4_P12ihipStream_tbEUlT_E0_NS1_11comp_targetILNS1_3genE0ELNS1_11target_archE4294967295ELNS1_3gpuE0ELNS1_3repE0EEENS1_30default_config_static_selectorELNS0_4arch9wavefront6targetE1EEEvSI_.kd
    .uniform_work_group_size: 1
    .uses_dynamic_stack: false
    .vgpr_count:     0
    .vgpr_spill_count: 0
    .wavefront_size: 64
  - .args:
      - .offset:         0
        .size:           64
        .value_kind:     by_value
    .group_segment_fixed_size: 0
    .kernarg_segment_align: 8
    .kernarg_segment_size: 64
    .language:       OpenCL C
    .language_version:
      - 2
      - 0
    .max_flat_workgroup_size: 256
    .name:           _ZN7rocprim17ROCPRIM_400000_NS6detail17trampoline_kernelINS0_14default_configENS1_22reduce_config_selectorIN6thrust23THRUST_200600_302600_NS5tupleIbffNS6_9null_typeES8_S8_S8_S8_S8_S8_EEEEZNS1_11reduce_implILb1ES3_PS9_SC_S9_12reduce_tupleIifEEE10hipError_tPvRmT1_T2_T3_mT4_P12ihipStream_tbEUlT_E0_NS1_11comp_targetILNS1_3genE5ELNS1_11target_archE942ELNS1_3gpuE9ELNS1_3repE0EEENS1_30default_config_static_selectorELNS0_4arch9wavefront6targetE1EEEvSI_
    .private_segment_fixed_size: 0
    .sgpr_count:     4
    .sgpr_spill_count: 0
    .symbol:         _ZN7rocprim17ROCPRIM_400000_NS6detail17trampoline_kernelINS0_14default_configENS1_22reduce_config_selectorIN6thrust23THRUST_200600_302600_NS5tupleIbffNS6_9null_typeES8_S8_S8_S8_S8_S8_EEEEZNS1_11reduce_implILb1ES3_PS9_SC_S9_12reduce_tupleIifEEE10hipError_tPvRmT1_T2_T3_mT4_P12ihipStream_tbEUlT_E0_NS1_11comp_targetILNS1_3genE5ELNS1_11target_archE942ELNS1_3gpuE9ELNS1_3repE0EEENS1_30default_config_static_selectorELNS0_4arch9wavefront6targetE1EEEvSI_.kd
    .uniform_work_group_size: 1
    .uses_dynamic_stack: false
    .vgpr_count:     0
    .vgpr_spill_count: 0
    .wavefront_size: 64
  - .args:
      - .offset:         0
        .size:           64
        .value_kind:     by_value
    .group_segment_fixed_size: 0
    .kernarg_segment_align: 8
    .kernarg_segment_size: 64
    .language:       OpenCL C
    .language_version:
      - 2
      - 0
    .max_flat_workgroup_size: 256
    .name:           _ZN7rocprim17ROCPRIM_400000_NS6detail17trampoline_kernelINS0_14default_configENS1_22reduce_config_selectorIN6thrust23THRUST_200600_302600_NS5tupleIbffNS6_9null_typeES8_S8_S8_S8_S8_S8_EEEEZNS1_11reduce_implILb1ES3_PS9_SC_S9_12reduce_tupleIifEEE10hipError_tPvRmT1_T2_T3_mT4_P12ihipStream_tbEUlT_E0_NS1_11comp_targetILNS1_3genE4ELNS1_11target_archE910ELNS1_3gpuE8ELNS1_3repE0EEENS1_30default_config_static_selectorELNS0_4arch9wavefront6targetE1EEEvSI_
    .private_segment_fixed_size: 0
    .sgpr_count:     4
    .sgpr_spill_count: 0
    .symbol:         _ZN7rocprim17ROCPRIM_400000_NS6detail17trampoline_kernelINS0_14default_configENS1_22reduce_config_selectorIN6thrust23THRUST_200600_302600_NS5tupleIbffNS6_9null_typeES8_S8_S8_S8_S8_S8_EEEEZNS1_11reduce_implILb1ES3_PS9_SC_S9_12reduce_tupleIifEEE10hipError_tPvRmT1_T2_T3_mT4_P12ihipStream_tbEUlT_E0_NS1_11comp_targetILNS1_3genE4ELNS1_11target_archE910ELNS1_3gpuE8ELNS1_3repE0EEENS1_30default_config_static_selectorELNS0_4arch9wavefront6targetE1EEEvSI_.kd
    .uniform_work_group_size: 1
    .uses_dynamic_stack: false
    .vgpr_count:     0
    .vgpr_spill_count: 0
    .wavefront_size: 64
  - .args:
      - .offset:         0
        .size:           64
        .value_kind:     by_value
    .group_segment_fixed_size: 0
    .kernarg_segment_align: 8
    .kernarg_segment_size: 64
    .language:       OpenCL C
    .language_version:
      - 2
      - 0
    .max_flat_workgroup_size: 128
    .name:           _ZN7rocprim17ROCPRIM_400000_NS6detail17trampoline_kernelINS0_14default_configENS1_22reduce_config_selectorIN6thrust23THRUST_200600_302600_NS5tupleIbffNS6_9null_typeES8_S8_S8_S8_S8_S8_EEEEZNS1_11reduce_implILb1ES3_PS9_SC_S9_12reduce_tupleIifEEE10hipError_tPvRmT1_T2_T3_mT4_P12ihipStream_tbEUlT_E0_NS1_11comp_targetILNS1_3genE3ELNS1_11target_archE908ELNS1_3gpuE7ELNS1_3repE0EEENS1_30default_config_static_selectorELNS0_4arch9wavefront6targetE1EEEvSI_
    .private_segment_fixed_size: 0
    .sgpr_count:     4
    .sgpr_spill_count: 0
    .symbol:         _ZN7rocprim17ROCPRIM_400000_NS6detail17trampoline_kernelINS0_14default_configENS1_22reduce_config_selectorIN6thrust23THRUST_200600_302600_NS5tupleIbffNS6_9null_typeES8_S8_S8_S8_S8_S8_EEEEZNS1_11reduce_implILb1ES3_PS9_SC_S9_12reduce_tupleIifEEE10hipError_tPvRmT1_T2_T3_mT4_P12ihipStream_tbEUlT_E0_NS1_11comp_targetILNS1_3genE3ELNS1_11target_archE908ELNS1_3gpuE7ELNS1_3repE0EEENS1_30default_config_static_selectorELNS0_4arch9wavefront6targetE1EEEvSI_.kd
    .uniform_work_group_size: 1
    .uses_dynamic_stack: false
    .vgpr_count:     0
    .vgpr_spill_count: 0
    .wavefront_size: 64
  - .args:
      - .offset:         0
        .size:           64
        .value_kind:     by_value
    .group_segment_fixed_size: 56
    .kernarg_segment_align: 8
    .kernarg_segment_size: 64
    .language:       OpenCL C
    .language_version:
      - 2
      - 0
    .max_flat_workgroup_size: 128
    .name:           _ZN7rocprim17ROCPRIM_400000_NS6detail17trampoline_kernelINS0_14default_configENS1_22reduce_config_selectorIN6thrust23THRUST_200600_302600_NS5tupleIbffNS6_9null_typeES8_S8_S8_S8_S8_S8_EEEEZNS1_11reduce_implILb1ES3_PS9_SC_S9_12reduce_tupleIifEEE10hipError_tPvRmT1_T2_T3_mT4_P12ihipStream_tbEUlT_E0_NS1_11comp_targetILNS1_3genE2ELNS1_11target_archE906ELNS1_3gpuE6ELNS1_3repE0EEENS1_30default_config_static_selectorELNS0_4arch9wavefront6targetE1EEEvSI_
    .private_segment_fixed_size: 0
    .sgpr_count:     26
    .sgpr_spill_count: 0
    .symbol:         _ZN7rocprim17ROCPRIM_400000_NS6detail17trampoline_kernelINS0_14default_configENS1_22reduce_config_selectorIN6thrust23THRUST_200600_302600_NS5tupleIbffNS6_9null_typeES8_S8_S8_S8_S8_S8_EEEEZNS1_11reduce_implILb1ES3_PS9_SC_S9_12reduce_tupleIifEEE10hipError_tPvRmT1_T2_T3_mT4_P12ihipStream_tbEUlT_E0_NS1_11comp_targetILNS1_3genE2ELNS1_11target_archE906ELNS1_3gpuE6ELNS1_3repE0EEENS1_30default_config_static_selectorELNS0_4arch9wavefront6targetE1EEEvSI_.kd
    .uniform_work_group_size: 1
    .uses_dynamic_stack: false
    .vgpr_count:     12
    .vgpr_spill_count: 0
    .wavefront_size: 64
  - .args:
      - .offset:         0
        .size:           64
        .value_kind:     by_value
    .group_segment_fixed_size: 0
    .kernarg_segment_align: 8
    .kernarg_segment_size: 64
    .language:       OpenCL C
    .language_version:
      - 2
      - 0
    .max_flat_workgroup_size: 256
    .name:           _ZN7rocprim17ROCPRIM_400000_NS6detail17trampoline_kernelINS0_14default_configENS1_22reduce_config_selectorIN6thrust23THRUST_200600_302600_NS5tupleIbffNS6_9null_typeES8_S8_S8_S8_S8_S8_EEEEZNS1_11reduce_implILb1ES3_PS9_SC_S9_12reduce_tupleIifEEE10hipError_tPvRmT1_T2_T3_mT4_P12ihipStream_tbEUlT_E0_NS1_11comp_targetILNS1_3genE10ELNS1_11target_archE1201ELNS1_3gpuE5ELNS1_3repE0EEENS1_30default_config_static_selectorELNS0_4arch9wavefront6targetE1EEEvSI_
    .private_segment_fixed_size: 0
    .sgpr_count:     4
    .sgpr_spill_count: 0
    .symbol:         _ZN7rocprim17ROCPRIM_400000_NS6detail17trampoline_kernelINS0_14default_configENS1_22reduce_config_selectorIN6thrust23THRUST_200600_302600_NS5tupleIbffNS6_9null_typeES8_S8_S8_S8_S8_S8_EEEEZNS1_11reduce_implILb1ES3_PS9_SC_S9_12reduce_tupleIifEEE10hipError_tPvRmT1_T2_T3_mT4_P12ihipStream_tbEUlT_E0_NS1_11comp_targetILNS1_3genE10ELNS1_11target_archE1201ELNS1_3gpuE5ELNS1_3repE0EEENS1_30default_config_static_selectorELNS0_4arch9wavefront6targetE1EEEvSI_.kd
    .uniform_work_group_size: 1
    .uses_dynamic_stack: false
    .vgpr_count:     0
    .vgpr_spill_count: 0
    .wavefront_size: 64
  - .args:
      - .offset:         0
        .size:           64
        .value_kind:     by_value
    .group_segment_fixed_size: 0
    .kernarg_segment_align: 8
    .kernarg_segment_size: 64
    .language:       OpenCL C
    .language_version:
      - 2
      - 0
    .max_flat_workgroup_size: 256
    .name:           _ZN7rocprim17ROCPRIM_400000_NS6detail17trampoline_kernelINS0_14default_configENS1_22reduce_config_selectorIN6thrust23THRUST_200600_302600_NS5tupleIbffNS6_9null_typeES8_S8_S8_S8_S8_S8_EEEEZNS1_11reduce_implILb1ES3_PS9_SC_S9_12reduce_tupleIifEEE10hipError_tPvRmT1_T2_T3_mT4_P12ihipStream_tbEUlT_E0_NS1_11comp_targetILNS1_3genE10ELNS1_11target_archE1200ELNS1_3gpuE4ELNS1_3repE0EEENS1_30default_config_static_selectorELNS0_4arch9wavefront6targetE1EEEvSI_
    .private_segment_fixed_size: 0
    .sgpr_count:     4
    .sgpr_spill_count: 0
    .symbol:         _ZN7rocprim17ROCPRIM_400000_NS6detail17trampoline_kernelINS0_14default_configENS1_22reduce_config_selectorIN6thrust23THRUST_200600_302600_NS5tupleIbffNS6_9null_typeES8_S8_S8_S8_S8_S8_EEEEZNS1_11reduce_implILb1ES3_PS9_SC_S9_12reduce_tupleIifEEE10hipError_tPvRmT1_T2_T3_mT4_P12ihipStream_tbEUlT_E0_NS1_11comp_targetILNS1_3genE10ELNS1_11target_archE1200ELNS1_3gpuE4ELNS1_3repE0EEENS1_30default_config_static_selectorELNS0_4arch9wavefront6targetE1EEEvSI_.kd
    .uniform_work_group_size: 1
    .uses_dynamic_stack: false
    .vgpr_count:     0
    .vgpr_spill_count: 0
    .wavefront_size: 64
  - .args:
      - .offset:         0
        .size:           64
        .value_kind:     by_value
    .group_segment_fixed_size: 0
    .kernarg_segment_align: 8
    .kernarg_segment_size: 64
    .language:       OpenCL C
    .language_version:
      - 2
      - 0
    .max_flat_workgroup_size: 256
    .name:           _ZN7rocprim17ROCPRIM_400000_NS6detail17trampoline_kernelINS0_14default_configENS1_22reduce_config_selectorIN6thrust23THRUST_200600_302600_NS5tupleIbffNS6_9null_typeES8_S8_S8_S8_S8_S8_EEEEZNS1_11reduce_implILb1ES3_PS9_SC_S9_12reduce_tupleIifEEE10hipError_tPvRmT1_T2_T3_mT4_P12ihipStream_tbEUlT_E0_NS1_11comp_targetILNS1_3genE9ELNS1_11target_archE1100ELNS1_3gpuE3ELNS1_3repE0EEENS1_30default_config_static_selectorELNS0_4arch9wavefront6targetE1EEEvSI_
    .private_segment_fixed_size: 0
    .sgpr_count:     4
    .sgpr_spill_count: 0
    .symbol:         _ZN7rocprim17ROCPRIM_400000_NS6detail17trampoline_kernelINS0_14default_configENS1_22reduce_config_selectorIN6thrust23THRUST_200600_302600_NS5tupleIbffNS6_9null_typeES8_S8_S8_S8_S8_S8_EEEEZNS1_11reduce_implILb1ES3_PS9_SC_S9_12reduce_tupleIifEEE10hipError_tPvRmT1_T2_T3_mT4_P12ihipStream_tbEUlT_E0_NS1_11comp_targetILNS1_3genE9ELNS1_11target_archE1100ELNS1_3gpuE3ELNS1_3repE0EEENS1_30default_config_static_selectorELNS0_4arch9wavefront6targetE1EEEvSI_.kd
    .uniform_work_group_size: 1
    .uses_dynamic_stack: false
    .vgpr_count:     0
    .vgpr_spill_count: 0
    .wavefront_size: 64
  - .args:
      - .offset:         0
        .size:           64
        .value_kind:     by_value
    .group_segment_fixed_size: 0
    .kernarg_segment_align: 8
    .kernarg_segment_size: 64
    .language:       OpenCL C
    .language_version:
      - 2
      - 0
    .max_flat_workgroup_size: 256
    .name:           _ZN7rocprim17ROCPRIM_400000_NS6detail17trampoline_kernelINS0_14default_configENS1_22reduce_config_selectorIN6thrust23THRUST_200600_302600_NS5tupleIbffNS6_9null_typeES8_S8_S8_S8_S8_S8_EEEEZNS1_11reduce_implILb1ES3_PS9_SC_S9_12reduce_tupleIifEEE10hipError_tPvRmT1_T2_T3_mT4_P12ihipStream_tbEUlT_E0_NS1_11comp_targetILNS1_3genE8ELNS1_11target_archE1030ELNS1_3gpuE2ELNS1_3repE0EEENS1_30default_config_static_selectorELNS0_4arch9wavefront6targetE1EEEvSI_
    .private_segment_fixed_size: 0
    .sgpr_count:     4
    .sgpr_spill_count: 0
    .symbol:         _ZN7rocprim17ROCPRIM_400000_NS6detail17trampoline_kernelINS0_14default_configENS1_22reduce_config_selectorIN6thrust23THRUST_200600_302600_NS5tupleIbffNS6_9null_typeES8_S8_S8_S8_S8_S8_EEEEZNS1_11reduce_implILb1ES3_PS9_SC_S9_12reduce_tupleIifEEE10hipError_tPvRmT1_T2_T3_mT4_P12ihipStream_tbEUlT_E0_NS1_11comp_targetILNS1_3genE8ELNS1_11target_archE1030ELNS1_3gpuE2ELNS1_3repE0EEENS1_30default_config_static_selectorELNS0_4arch9wavefront6targetE1EEEvSI_.kd
    .uniform_work_group_size: 1
    .uses_dynamic_stack: false
    .vgpr_count:     0
    .vgpr_spill_count: 0
    .wavefront_size: 64
  - .args:
      - .offset:         0
        .size:           48
        .value_kind:     by_value
    .group_segment_fixed_size: 0
    .kernarg_segment_align: 8
    .kernarg_segment_size: 48
    .language:       OpenCL C
    .language_version:
      - 2
      - 0
    .max_flat_workgroup_size: 128
    .name:           _ZN7rocprim17ROCPRIM_400000_NS6detail17trampoline_kernelINS0_14default_configENS1_22reduce_config_selectorIN6thrust23THRUST_200600_302600_NS5tupleIbffNS6_9null_typeES8_S8_S8_S8_S8_S8_EEEEZNS1_11reduce_implILb1ES3_PS9_SC_S9_12reduce_tupleIifEEE10hipError_tPvRmT1_T2_T3_mT4_P12ihipStream_tbEUlT_E1_NS1_11comp_targetILNS1_3genE0ELNS1_11target_archE4294967295ELNS1_3gpuE0ELNS1_3repE0EEENS1_30default_config_static_selectorELNS0_4arch9wavefront6targetE1EEEvSI_
    .private_segment_fixed_size: 0
    .sgpr_count:     4
    .sgpr_spill_count: 0
    .symbol:         _ZN7rocprim17ROCPRIM_400000_NS6detail17trampoline_kernelINS0_14default_configENS1_22reduce_config_selectorIN6thrust23THRUST_200600_302600_NS5tupleIbffNS6_9null_typeES8_S8_S8_S8_S8_S8_EEEEZNS1_11reduce_implILb1ES3_PS9_SC_S9_12reduce_tupleIifEEE10hipError_tPvRmT1_T2_T3_mT4_P12ihipStream_tbEUlT_E1_NS1_11comp_targetILNS1_3genE0ELNS1_11target_archE4294967295ELNS1_3gpuE0ELNS1_3repE0EEENS1_30default_config_static_selectorELNS0_4arch9wavefront6targetE1EEEvSI_.kd
    .uniform_work_group_size: 1
    .uses_dynamic_stack: false
    .vgpr_count:     0
    .vgpr_spill_count: 0
    .wavefront_size: 64
  - .args:
      - .offset:         0
        .size:           48
        .value_kind:     by_value
    .group_segment_fixed_size: 0
    .kernarg_segment_align: 8
    .kernarg_segment_size: 48
    .language:       OpenCL C
    .language_version:
      - 2
      - 0
    .max_flat_workgroup_size: 256
    .name:           _ZN7rocprim17ROCPRIM_400000_NS6detail17trampoline_kernelINS0_14default_configENS1_22reduce_config_selectorIN6thrust23THRUST_200600_302600_NS5tupleIbffNS6_9null_typeES8_S8_S8_S8_S8_S8_EEEEZNS1_11reduce_implILb1ES3_PS9_SC_S9_12reduce_tupleIifEEE10hipError_tPvRmT1_T2_T3_mT4_P12ihipStream_tbEUlT_E1_NS1_11comp_targetILNS1_3genE5ELNS1_11target_archE942ELNS1_3gpuE9ELNS1_3repE0EEENS1_30default_config_static_selectorELNS0_4arch9wavefront6targetE1EEEvSI_
    .private_segment_fixed_size: 0
    .sgpr_count:     4
    .sgpr_spill_count: 0
    .symbol:         _ZN7rocprim17ROCPRIM_400000_NS6detail17trampoline_kernelINS0_14default_configENS1_22reduce_config_selectorIN6thrust23THRUST_200600_302600_NS5tupleIbffNS6_9null_typeES8_S8_S8_S8_S8_S8_EEEEZNS1_11reduce_implILb1ES3_PS9_SC_S9_12reduce_tupleIifEEE10hipError_tPvRmT1_T2_T3_mT4_P12ihipStream_tbEUlT_E1_NS1_11comp_targetILNS1_3genE5ELNS1_11target_archE942ELNS1_3gpuE9ELNS1_3repE0EEENS1_30default_config_static_selectorELNS0_4arch9wavefront6targetE1EEEvSI_.kd
    .uniform_work_group_size: 1
    .uses_dynamic_stack: false
    .vgpr_count:     0
    .vgpr_spill_count: 0
    .wavefront_size: 64
  - .args:
      - .offset:         0
        .size:           48
        .value_kind:     by_value
    .group_segment_fixed_size: 0
    .kernarg_segment_align: 8
    .kernarg_segment_size: 48
    .language:       OpenCL C
    .language_version:
      - 2
      - 0
    .max_flat_workgroup_size: 256
    .name:           _ZN7rocprim17ROCPRIM_400000_NS6detail17trampoline_kernelINS0_14default_configENS1_22reduce_config_selectorIN6thrust23THRUST_200600_302600_NS5tupleIbffNS6_9null_typeES8_S8_S8_S8_S8_S8_EEEEZNS1_11reduce_implILb1ES3_PS9_SC_S9_12reduce_tupleIifEEE10hipError_tPvRmT1_T2_T3_mT4_P12ihipStream_tbEUlT_E1_NS1_11comp_targetILNS1_3genE4ELNS1_11target_archE910ELNS1_3gpuE8ELNS1_3repE0EEENS1_30default_config_static_selectorELNS0_4arch9wavefront6targetE1EEEvSI_
    .private_segment_fixed_size: 0
    .sgpr_count:     4
    .sgpr_spill_count: 0
    .symbol:         _ZN7rocprim17ROCPRIM_400000_NS6detail17trampoline_kernelINS0_14default_configENS1_22reduce_config_selectorIN6thrust23THRUST_200600_302600_NS5tupleIbffNS6_9null_typeES8_S8_S8_S8_S8_S8_EEEEZNS1_11reduce_implILb1ES3_PS9_SC_S9_12reduce_tupleIifEEE10hipError_tPvRmT1_T2_T3_mT4_P12ihipStream_tbEUlT_E1_NS1_11comp_targetILNS1_3genE4ELNS1_11target_archE910ELNS1_3gpuE8ELNS1_3repE0EEENS1_30default_config_static_selectorELNS0_4arch9wavefront6targetE1EEEvSI_.kd
    .uniform_work_group_size: 1
    .uses_dynamic_stack: false
    .vgpr_count:     0
    .vgpr_spill_count: 0
    .wavefront_size: 64
  - .args:
      - .offset:         0
        .size:           48
        .value_kind:     by_value
    .group_segment_fixed_size: 0
    .kernarg_segment_align: 8
    .kernarg_segment_size: 48
    .language:       OpenCL C
    .language_version:
      - 2
      - 0
    .max_flat_workgroup_size: 128
    .name:           _ZN7rocprim17ROCPRIM_400000_NS6detail17trampoline_kernelINS0_14default_configENS1_22reduce_config_selectorIN6thrust23THRUST_200600_302600_NS5tupleIbffNS6_9null_typeES8_S8_S8_S8_S8_S8_EEEEZNS1_11reduce_implILb1ES3_PS9_SC_S9_12reduce_tupleIifEEE10hipError_tPvRmT1_T2_T3_mT4_P12ihipStream_tbEUlT_E1_NS1_11comp_targetILNS1_3genE3ELNS1_11target_archE908ELNS1_3gpuE7ELNS1_3repE0EEENS1_30default_config_static_selectorELNS0_4arch9wavefront6targetE1EEEvSI_
    .private_segment_fixed_size: 0
    .sgpr_count:     4
    .sgpr_spill_count: 0
    .symbol:         _ZN7rocprim17ROCPRIM_400000_NS6detail17trampoline_kernelINS0_14default_configENS1_22reduce_config_selectorIN6thrust23THRUST_200600_302600_NS5tupleIbffNS6_9null_typeES8_S8_S8_S8_S8_S8_EEEEZNS1_11reduce_implILb1ES3_PS9_SC_S9_12reduce_tupleIifEEE10hipError_tPvRmT1_T2_T3_mT4_P12ihipStream_tbEUlT_E1_NS1_11comp_targetILNS1_3genE3ELNS1_11target_archE908ELNS1_3gpuE7ELNS1_3repE0EEENS1_30default_config_static_selectorELNS0_4arch9wavefront6targetE1EEEvSI_.kd
    .uniform_work_group_size: 1
    .uses_dynamic_stack: false
    .vgpr_count:     0
    .vgpr_spill_count: 0
    .wavefront_size: 64
  - .args:
      - .offset:         0
        .size:           48
        .value_kind:     by_value
    .group_segment_fixed_size: 184
    .kernarg_segment_align: 8
    .kernarg_segment_size: 48
    .language:       OpenCL C
    .language_version:
      - 2
      - 0
    .max_flat_workgroup_size: 128
    .name:           _ZN7rocprim17ROCPRIM_400000_NS6detail17trampoline_kernelINS0_14default_configENS1_22reduce_config_selectorIN6thrust23THRUST_200600_302600_NS5tupleIbffNS6_9null_typeES8_S8_S8_S8_S8_S8_EEEEZNS1_11reduce_implILb1ES3_PS9_SC_S9_12reduce_tupleIifEEE10hipError_tPvRmT1_T2_T3_mT4_P12ihipStream_tbEUlT_E1_NS1_11comp_targetILNS1_3genE2ELNS1_11target_archE906ELNS1_3gpuE6ELNS1_3repE0EEENS1_30default_config_static_selectorELNS0_4arch9wavefront6targetE1EEEvSI_
    .private_segment_fixed_size: 0
    .sgpr_count:     54
    .sgpr_spill_count: 0
    .symbol:         _ZN7rocprim17ROCPRIM_400000_NS6detail17trampoline_kernelINS0_14default_configENS1_22reduce_config_selectorIN6thrust23THRUST_200600_302600_NS5tupleIbffNS6_9null_typeES8_S8_S8_S8_S8_S8_EEEEZNS1_11reduce_implILb1ES3_PS9_SC_S9_12reduce_tupleIifEEE10hipError_tPvRmT1_T2_T3_mT4_P12ihipStream_tbEUlT_E1_NS1_11comp_targetILNS1_3genE2ELNS1_11target_archE906ELNS1_3gpuE6ELNS1_3repE0EEENS1_30default_config_static_selectorELNS0_4arch9wavefront6targetE1EEEvSI_.kd
    .uniform_work_group_size: 1
    .uses_dynamic_stack: false
    .vgpr_count:     51
    .vgpr_spill_count: 0
    .wavefront_size: 64
  - .args:
      - .offset:         0
        .size:           48
        .value_kind:     by_value
    .group_segment_fixed_size: 0
    .kernarg_segment_align: 8
    .kernarg_segment_size: 48
    .language:       OpenCL C
    .language_version:
      - 2
      - 0
    .max_flat_workgroup_size: 256
    .name:           _ZN7rocprim17ROCPRIM_400000_NS6detail17trampoline_kernelINS0_14default_configENS1_22reduce_config_selectorIN6thrust23THRUST_200600_302600_NS5tupleIbffNS6_9null_typeES8_S8_S8_S8_S8_S8_EEEEZNS1_11reduce_implILb1ES3_PS9_SC_S9_12reduce_tupleIifEEE10hipError_tPvRmT1_T2_T3_mT4_P12ihipStream_tbEUlT_E1_NS1_11comp_targetILNS1_3genE10ELNS1_11target_archE1201ELNS1_3gpuE5ELNS1_3repE0EEENS1_30default_config_static_selectorELNS0_4arch9wavefront6targetE1EEEvSI_
    .private_segment_fixed_size: 0
    .sgpr_count:     4
    .sgpr_spill_count: 0
    .symbol:         _ZN7rocprim17ROCPRIM_400000_NS6detail17trampoline_kernelINS0_14default_configENS1_22reduce_config_selectorIN6thrust23THRUST_200600_302600_NS5tupleIbffNS6_9null_typeES8_S8_S8_S8_S8_S8_EEEEZNS1_11reduce_implILb1ES3_PS9_SC_S9_12reduce_tupleIifEEE10hipError_tPvRmT1_T2_T3_mT4_P12ihipStream_tbEUlT_E1_NS1_11comp_targetILNS1_3genE10ELNS1_11target_archE1201ELNS1_3gpuE5ELNS1_3repE0EEENS1_30default_config_static_selectorELNS0_4arch9wavefront6targetE1EEEvSI_.kd
    .uniform_work_group_size: 1
    .uses_dynamic_stack: false
    .vgpr_count:     0
    .vgpr_spill_count: 0
    .wavefront_size: 64
  - .args:
      - .offset:         0
        .size:           48
        .value_kind:     by_value
    .group_segment_fixed_size: 0
    .kernarg_segment_align: 8
    .kernarg_segment_size: 48
    .language:       OpenCL C
    .language_version:
      - 2
      - 0
    .max_flat_workgroup_size: 256
    .name:           _ZN7rocprim17ROCPRIM_400000_NS6detail17trampoline_kernelINS0_14default_configENS1_22reduce_config_selectorIN6thrust23THRUST_200600_302600_NS5tupleIbffNS6_9null_typeES8_S8_S8_S8_S8_S8_EEEEZNS1_11reduce_implILb1ES3_PS9_SC_S9_12reduce_tupleIifEEE10hipError_tPvRmT1_T2_T3_mT4_P12ihipStream_tbEUlT_E1_NS1_11comp_targetILNS1_3genE10ELNS1_11target_archE1200ELNS1_3gpuE4ELNS1_3repE0EEENS1_30default_config_static_selectorELNS0_4arch9wavefront6targetE1EEEvSI_
    .private_segment_fixed_size: 0
    .sgpr_count:     4
    .sgpr_spill_count: 0
    .symbol:         _ZN7rocprim17ROCPRIM_400000_NS6detail17trampoline_kernelINS0_14default_configENS1_22reduce_config_selectorIN6thrust23THRUST_200600_302600_NS5tupleIbffNS6_9null_typeES8_S8_S8_S8_S8_S8_EEEEZNS1_11reduce_implILb1ES3_PS9_SC_S9_12reduce_tupleIifEEE10hipError_tPvRmT1_T2_T3_mT4_P12ihipStream_tbEUlT_E1_NS1_11comp_targetILNS1_3genE10ELNS1_11target_archE1200ELNS1_3gpuE4ELNS1_3repE0EEENS1_30default_config_static_selectorELNS0_4arch9wavefront6targetE1EEEvSI_.kd
    .uniform_work_group_size: 1
    .uses_dynamic_stack: false
    .vgpr_count:     0
    .vgpr_spill_count: 0
    .wavefront_size: 64
  - .args:
      - .offset:         0
        .size:           48
        .value_kind:     by_value
    .group_segment_fixed_size: 0
    .kernarg_segment_align: 8
    .kernarg_segment_size: 48
    .language:       OpenCL C
    .language_version:
      - 2
      - 0
    .max_flat_workgroup_size: 256
    .name:           _ZN7rocprim17ROCPRIM_400000_NS6detail17trampoline_kernelINS0_14default_configENS1_22reduce_config_selectorIN6thrust23THRUST_200600_302600_NS5tupleIbffNS6_9null_typeES8_S8_S8_S8_S8_S8_EEEEZNS1_11reduce_implILb1ES3_PS9_SC_S9_12reduce_tupleIifEEE10hipError_tPvRmT1_T2_T3_mT4_P12ihipStream_tbEUlT_E1_NS1_11comp_targetILNS1_3genE9ELNS1_11target_archE1100ELNS1_3gpuE3ELNS1_3repE0EEENS1_30default_config_static_selectorELNS0_4arch9wavefront6targetE1EEEvSI_
    .private_segment_fixed_size: 0
    .sgpr_count:     4
    .sgpr_spill_count: 0
    .symbol:         _ZN7rocprim17ROCPRIM_400000_NS6detail17trampoline_kernelINS0_14default_configENS1_22reduce_config_selectorIN6thrust23THRUST_200600_302600_NS5tupleIbffNS6_9null_typeES8_S8_S8_S8_S8_S8_EEEEZNS1_11reduce_implILb1ES3_PS9_SC_S9_12reduce_tupleIifEEE10hipError_tPvRmT1_T2_T3_mT4_P12ihipStream_tbEUlT_E1_NS1_11comp_targetILNS1_3genE9ELNS1_11target_archE1100ELNS1_3gpuE3ELNS1_3repE0EEENS1_30default_config_static_selectorELNS0_4arch9wavefront6targetE1EEEvSI_.kd
    .uniform_work_group_size: 1
    .uses_dynamic_stack: false
    .vgpr_count:     0
    .vgpr_spill_count: 0
    .wavefront_size: 64
  - .args:
      - .offset:         0
        .size:           48
        .value_kind:     by_value
    .group_segment_fixed_size: 0
    .kernarg_segment_align: 8
    .kernarg_segment_size: 48
    .language:       OpenCL C
    .language_version:
      - 2
      - 0
    .max_flat_workgroup_size: 256
    .name:           _ZN7rocprim17ROCPRIM_400000_NS6detail17trampoline_kernelINS0_14default_configENS1_22reduce_config_selectorIN6thrust23THRUST_200600_302600_NS5tupleIbffNS6_9null_typeES8_S8_S8_S8_S8_S8_EEEEZNS1_11reduce_implILb1ES3_PS9_SC_S9_12reduce_tupleIifEEE10hipError_tPvRmT1_T2_T3_mT4_P12ihipStream_tbEUlT_E1_NS1_11comp_targetILNS1_3genE8ELNS1_11target_archE1030ELNS1_3gpuE2ELNS1_3repE0EEENS1_30default_config_static_selectorELNS0_4arch9wavefront6targetE1EEEvSI_
    .private_segment_fixed_size: 0
    .sgpr_count:     4
    .sgpr_spill_count: 0
    .symbol:         _ZN7rocprim17ROCPRIM_400000_NS6detail17trampoline_kernelINS0_14default_configENS1_22reduce_config_selectorIN6thrust23THRUST_200600_302600_NS5tupleIbffNS6_9null_typeES8_S8_S8_S8_S8_S8_EEEEZNS1_11reduce_implILb1ES3_PS9_SC_S9_12reduce_tupleIifEEE10hipError_tPvRmT1_T2_T3_mT4_P12ihipStream_tbEUlT_E1_NS1_11comp_targetILNS1_3genE8ELNS1_11target_archE1030ELNS1_3gpuE2ELNS1_3repE0EEENS1_30default_config_static_selectorELNS0_4arch9wavefront6targetE1EEEvSI_.kd
    .uniform_work_group_size: 1
    .uses_dynamic_stack: false
    .vgpr_count:     0
    .vgpr_spill_count: 0
    .wavefront_size: 64
  - .args:
      - .offset:         0
        .size:           80
        .value_kind:     by_value
    .group_segment_fixed_size: 0
    .kernarg_segment_align: 8
    .kernarg_segment_size: 80
    .language:       OpenCL C
    .language_version:
      - 2
      - 0
    .max_flat_workgroup_size: 128
    .name:           _ZN7rocprim17ROCPRIM_400000_NS6detail17trampoline_kernelINS0_14default_configENS1_22reduce_config_selectorIN6thrust23THRUST_200600_302600_NS5tupleIbffNS6_9null_typeES8_S8_S8_S8_S8_S8_EEEEZNS1_11reduce_implILb1ES3_NS6_11hip_rocprim26transform_input_iterator_tIS9_NS6_12zip_iteratorINS7_INS6_17counting_iteratorIiNS6_11use_defaultESG_SG_EENS6_6detail15normal_iteratorINS6_10device_ptrIfEEEES8_S8_S8_S8_S8_S8_S8_S8_EEEE15transform_tupleIifEEEPS9_S9_12reduce_tupleIifEEE10hipError_tPvRmT1_T2_T3_mT4_P12ihipStream_tbEUlT_E0_NS1_11comp_targetILNS1_3genE0ELNS1_11target_archE4294967295ELNS1_3gpuE0ELNS1_3repE0EEENS1_30default_config_static_selectorELNS0_4arch9wavefront6targetE1EEEvSY_
    .private_segment_fixed_size: 0
    .sgpr_count:     4
    .sgpr_spill_count: 0
    .symbol:         _ZN7rocprim17ROCPRIM_400000_NS6detail17trampoline_kernelINS0_14default_configENS1_22reduce_config_selectorIN6thrust23THRUST_200600_302600_NS5tupleIbffNS6_9null_typeES8_S8_S8_S8_S8_S8_EEEEZNS1_11reduce_implILb1ES3_NS6_11hip_rocprim26transform_input_iterator_tIS9_NS6_12zip_iteratorINS7_INS6_17counting_iteratorIiNS6_11use_defaultESG_SG_EENS6_6detail15normal_iteratorINS6_10device_ptrIfEEEES8_S8_S8_S8_S8_S8_S8_S8_EEEE15transform_tupleIifEEEPS9_S9_12reduce_tupleIifEEE10hipError_tPvRmT1_T2_T3_mT4_P12ihipStream_tbEUlT_E0_NS1_11comp_targetILNS1_3genE0ELNS1_11target_archE4294967295ELNS1_3gpuE0ELNS1_3repE0EEENS1_30default_config_static_selectorELNS0_4arch9wavefront6targetE1EEEvSY_.kd
    .uniform_work_group_size: 1
    .uses_dynamic_stack: false
    .vgpr_count:     0
    .vgpr_spill_count: 0
    .wavefront_size: 64
  - .args:
      - .offset:         0
        .size:           80
        .value_kind:     by_value
    .group_segment_fixed_size: 0
    .kernarg_segment_align: 8
    .kernarg_segment_size: 80
    .language:       OpenCL C
    .language_version:
      - 2
      - 0
    .max_flat_workgroup_size: 256
    .name:           _ZN7rocprim17ROCPRIM_400000_NS6detail17trampoline_kernelINS0_14default_configENS1_22reduce_config_selectorIN6thrust23THRUST_200600_302600_NS5tupleIbffNS6_9null_typeES8_S8_S8_S8_S8_S8_EEEEZNS1_11reduce_implILb1ES3_NS6_11hip_rocprim26transform_input_iterator_tIS9_NS6_12zip_iteratorINS7_INS6_17counting_iteratorIiNS6_11use_defaultESG_SG_EENS6_6detail15normal_iteratorINS6_10device_ptrIfEEEES8_S8_S8_S8_S8_S8_S8_S8_EEEE15transform_tupleIifEEEPS9_S9_12reduce_tupleIifEEE10hipError_tPvRmT1_T2_T3_mT4_P12ihipStream_tbEUlT_E0_NS1_11comp_targetILNS1_3genE5ELNS1_11target_archE942ELNS1_3gpuE9ELNS1_3repE0EEENS1_30default_config_static_selectorELNS0_4arch9wavefront6targetE1EEEvSY_
    .private_segment_fixed_size: 0
    .sgpr_count:     4
    .sgpr_spill_count: 0
    .symbol:         _ZN7rocprim17ROCPRIM_400000_NS6detail17trampoline_kernelINS0_14default_configENS1_22reduce_config_selectorIN6thrust23THRUST_200600_302600_NS5tupleIbffNS6_9null_typeES8_S8_S8_S8_S8_S8_EEEEZNS1_11reduce_implILb1ES3_NS6_11hip_rocprim26transform_input_iterator_tIS9_NS6_12zip_iteratorINS7_INS6_17counting_iteratorIiNS6_11use_defaultESG_SG_EENS6_6detail15normal_iteratorINS6_10device_ptrIfEEEES8_S8_S8_S8_S8_S8_S8_S8_EEEE15transform_tupleIifEEEPS9_S9_12reduce_tupleIifEEE10hipError_tPvRmT1_T2_T3_mT4_P12ihipStream_tbEUlT_E0_NS1_11comp_targetILNS1_3genE5ELNS1_11target_archE942ELNS1_3gpuE9ELNS1_3repE0EEENS1_30default_config_static_selectorELNS0_4arch9wavefront6targetE1EEEvSY_.kd
    .uniform_work_group_size: 1
    .uses_dynamic_stack: false
    .vgpr_count:     0
    .vgpr_spill_count: 0
    .wavefront_size: 64
  - .args:
      - .offset:         0
        .size:           80
        .value_kind:     by_value
    .group_segment_fixed_size: 0
    .kernarg_segment_align: 8
    .kernarg_segment_size: 80
    .language:       OpenCL C
    .language_version:
      - 2
      - 0
    .max_flat_workgroup_size: 256
    .name:           _ZN7rocprim17ROCPRIM_400000_NS6detail17trampoline_kernelINS0_14default_configENS1_22reduce_config_selectorIN6thrust23THRUST_200600_302600_NS5tupleIbffNS6_9null_typeES8_S8_S8_S8_S8_S8_EEEEZNS1_11reduce_implILb1ES3_NS6_11hip_rocprim26transform_input_iterator_tIS9_NS6_12zip_iteratorINS7_INS6_17counting_iteratorIiNS6_11use_defaultESG_SG_EENS6_6detail15normal_iteratorINS6_10device_ptrIfEEEES8_S8_S8_S8_S8_S8_S8_S8_EEEE15transform_tupleIifEEEPS9_S9_12reduce_tupleIifEEE10hipError_tPvRmT1_T2_T3_mT4_P12ihipStream_tbEUlT_E0_NS1_11comp_targetILNS1_3genE4ELNS1_11target_archE910ELNS1_3gpuE8ELNS1_3repE0EEENS1_30default_config_static_selectorELNS0_4arch9wavefront6targetE1EEEvSY_
    .private_segment_fixed_size: 0
    .sgpr_count:     4
    .sgpr_spill_count: 0
    .symbol:         _ZN7rocprim17ROCPRIM_400000_NS6detail17trampoline_kernelINS0_14default_configENS1_22reduce_config_selectorIN6thrust23THRUST_200600_302600_NS5tupleIbffNS6_9null_typeES8_S8_S8_S8_S8_S8_EEEEZNS1_11reduce_implILb1ES3_NS6_11hip_rocprim26transform_input_iterator_tIS9_NS6_12zip_iteratorINS7_INS6_17counting_iteratorIiNS6_11use_defaultESG_SG_EENS6_6detail15normal_iteratorINS6_10device_ptrIfEEEES8_S8_S8_S8_S8_S8_S8_S8_EEEE15transform_tupleIifEEEPS9_S9_12reduce_tupleIifEEE10hipError_tPvRmT1_T2_T3_mT4_P12ihipStream_tbEUlT_E0_NS1_11comp_targetILNS1_3genE4ELNS1_11target_archE910ELNS1_3gpuE8ELNS1_3repE0EEENS1_30default_config_static_selectorELNS0_4arch9wavefront6targetE1EEEvSY_.kd
    .uniform_work_group_size: 1
    .uses_dynamic_stack: false
    .vgpr_count:     0
    .vgpr_spill_count: 0
    .wavefront_size: 64
  - .args:
      - .offset:         0
        .size:           80
        .value_kind:     by_value
    .group_segment_fixed_size: 0
    .kernarg_segment_align: 8
    .kernarg_segment_size: 80
    .language:       OpenCL C
    .language_version:
      - 2
      - 0
    .max_flat_workgroup_size: 128
    .name:           _ZN7rocprim17ROCPRIM_400000_NS6detail17trampoline_kernelINS0_14default_configENS1_22reduce_config_selectorIN6thrust23THRUST_200600_302600_NS5tupleIbffNS6_9null_typeES8_S8_S8_S8_S8_S8_EEEEZNS1_11reduce_implILb1ES3_NS6_11hip_rocprim26transform_input_iterator_tIS9_NS6_12zip_iteratorINS7_INS6_17counting_iteratorIiNS6_11use_defaultESG_SG_EENS6_6detail15normal_iteratorINS6_10device_ptrIfEEEES8_S8_S8_S8_S8_S8_S8_S8_EEEE15transform_tupleIifEEEPS9_S9_12reduce_tupleIifEEE10hipError_tPvRmT1_T2_T3_mT4_P12ihipStream_tbEUlT_E0_NS1_11comp_targetILNS1_3genE3ELNS1_11target_archE908ELNS1_3gpuE7ELNS1_3repE0EEENS1_30default_config_static_selectorELNS0_4arch9wavefront6targetE1EEEvSY_
    .private_segment_fixed_size: 0
    .sgpr_count:     4
    .sgpr_spill_count: 0
    .symbol:         _ZN7rocprim17ROCPRIM_400000_NS6detail17trampoline_kernelINS0_14default_configENS1_22reduce_config_selectorIN6thrust23THRUST_200600_302600_NS5tupleIbffNS6_9null_typeES8_S8_S8_S8_S8_S8_EEEEZNS1_11reduce_implILb1ES3_NS6_11hip_rocprim26transform_input_iterator_tIS9_NS6_12zip_iteratorINS7_INS6_17counting_iteratorIiNS6_11use_defaultESG_SG_EENS6_6detail15normal_iteratorINS6_10device_ptrIfEEEES8_S8_S8_S8_S8_S8_S8_S8_EEEE15transform_tupleIifEEEPS9_S9_12reduce_tupleIifEEE10hipError_tPvRmT1_T2_T3_mT4_P12ihipStream_tbEUlT_E0_NS1_11comp_targetILNS1_3genE3ELNS1_11target_archE908ELNS1_3gpuE7ELNS1_3repE0EEENS1_30default_config_static_selectorELNS0_4arch9wavefront6targetE1EEEvSY_.kd
    .uniform_work_group_size: 1
    .uses_dynamic_stack: false
    .vgpr_count:     0
    .vgpr_spill_count: 0
    .wavefront_size: 64
  - .args:
      - .offset:         0
        .size:           80
        .value_kind:     by_value
    .group_segment_fixed_size: 56
    .kernarg_segment_align: 8
    .kernarg_segment_size: 80
    .language:       OpenCL C
    .language_version:
      - 2
      - 0
    .max_flat_workgroup_size: 128
    .name:           _ZN7rocprim17ROCPRIM_400000_NS6detail17trampoline_kernelINS0_14default_configENS1_22reduce_config_selectorIN6thrust23THRUST_200600_302600_NS5tupleIbffNS6_9null_typeES8_S8_S8_S8_S8_S8_EEEEZNS1_11reduce_implILb1ES3_NS6_11hip_rocprim26transform_input_iterator_tIS9_NS6_12zip_iteratorINS7_INS6_17counting_iteratorIiNS6_11use_defaultESG_SG_EENS6_6detail15normal_iteratorINS6_10device_ptrIfEEEES8_S8_S8_S8_S8_S8_S8_S8_EEEE15transform_tupleIifEEEPS9_S9_12reduce_tupleIifEEE10hipError_tPvRmT1_T2_T3_mT4_P12ihipStream_tbEUlT_E0_NS1_11comp_targetILNS1_3genE2ELNS1_11target_archE906ELNS1_3gpuE6ELNS1_3repE0EEENS1_30default_config_static_selectorELNS0_4arch9wavefront6targetE1EEEvSY_
    .private_segment_fixed_size: 0
    .sgpr_count:     29
    .sgpr_spill_count: 0
    .symbol:         _ZN7rocprim17ROCPRIM_400000_NS6detail17trampoline_kernelINS0_14default_configENS1_22reduce_config_selectorIN6thrust23THRUST_200600_302600_NS5tupleIbffNS6_9null_typeES8_S8_S8_S8_S8_S8_EEEEZNS1_11reduce_implILb1ES3_NS6_11hip_rocprim26transform_input_iterator_tIS9_NS6_12zip_iteratorINS7_INS6_17counting_iteratorIiNS6_11use_defaultESG_SG_EENS6_6detail15normal_iteratorINS6_10device_ptrIfEEEES8_S8_S8_S8_S8_S8_S8_S8_EEEE15transform_tupleIifEEEPS9_S9_12reduce_tupleIifEEE10hipError_tPvRmT1_T2_T3_mT4_P12ihipStream_tbEUlT_E0_NS1_11comp_targetILNS1_3genE2ELNS1_11target_archE906ELNS1_3gpuE6ELNS1_3repE0EEENS1_30default_config_static_selectorELNS0_4arch9wavefront6targetE1EEEvSY_.kd
    .uniform_work_group_size: 1
    .uses_dynamic_stack: false
    .vgpr_count:     12
    .vgpr_spill_count: 0
    .wavefront_size: 64
  - .args:
      - .offset:         0
        .size:           80
        .value_kind:     by_value
    .group_segment_fixed_size: 0
    .kernarg_segment_align: 8
    .kernarg_segment_size: 80
    .language:       OpenCL C
    .language_version:
      - 2
      - 0
    .max_flat_workgroup_size: 256
    .name:           _ZN7rocprim17ROCPRIM_400000_NS6detail17trampoline_kernelINS0_14default_configENS1_22reduce_config_selectorIN6thrust23THRUST_200600_302600_NS5tupleIbffNS6_9null_typeES8_S8_S8_S8_S8_S8_EEEEZNS1_11reduce_implILb1ES3_NS6_11hip_rocprim26transform_input_iterator_tIS9_NS6_12zip_iteratorINS7_INS6_17counting_iteratorIiNS6_11use_defaultESG_SG_EENS6_6detail15normal_iteratorINS6_10device_ptrIfEEEES8_S8_S8_S8_S8_S8_S8_S8_EEEE15transform_tupleIifEEEPS9_S9_12reduce_tupleIifEEE10hipError_tPvRmT1_T2_T3_mT4_P12ihipStream_tbEUlT_E0_NS1_11comp_targetILNS1_3genE10ELNS1_11target_archE1201ELNS1_3gpuE5ELNS1_3repE0EEENS1_30default_config_static_selectorELNS0_4arch9wavefront6targetE1EEEvSY_
    .private_segment_fixed_size: 0
    .sgpr_count:     4
    .sgpr_spill_count: 0
    .symbol:         _ZN7rocprim17ROCPRIM_400000_NS6detail17trampoline_kernelINS0_14default_configENS1_22reduce_config_selectorIN6thrust23THRUST_200600_302600_NS5tupleIbffNS6_9null_typeES8_S8_S8_S8_S8_S8_EEEEZNS1_11reduce_implILb1ES3_NS6_11hip_rocprim26transform_input_iterator_tIS9_NS6_12zip_iteratorINS7_INS6_17counting_iteratorIiNS6_11use_defaultESG_SG_EENS6_6detail15normal_iteratorINS6_10device_ptrIfEEEES8_S8_S8_S8_S8_S8_S8_S8_EEEE15transform_tupleIifEEEPS9_S9_12reduce_tupleIifEEE10hipError_tPvRmT1_T2_T3_mT4_P12ihipStream_tbEUlT_E0_NS1_11comp_targetILNS1_3genE10ELNS1_11target_archE1201ELNS1_3gpuE5ELNS1_3repE0EEENS1_30default_config_static_selectorELNS0_4arch9wavefront6targetE1EEEvSY_.kd
    .uniform_work_group_size: 1
    .uses_dynamic_stack: false
    .vgpr_count:     0
    .vgpr_spill_count: 0
    .wavefront_size: 64
  - .args:
      - .offset:         0
        .size:           80
        .value_kind:     by_value
    .group_segment_fixed_size: 0
    .kernarg_segment_align: 8
    .kernarg_segment_size: 80
    .language:       OpenCL C
    .language_version:
      - 2
      - 0
    .max_flat_workgroup_size: 256
    .name:           _ZN7rocprim17ROCPRIM_400000_NS6detail17trampoline_kernelINS0_14default_configENS1_22reduce_config_selectorIN6thrust23THRUST_200600_302600_NS5tupleIbffNS6_9null_typeES8_S8_S8_S8_S8_S8_EEEEZNS1_11reduce_implILb1ES3_NS6_11hip_rocprim26transform_input_iterator_tIS9_NS6_12zip_iteratorINS7_INS6_17counting_iteratorIiNS6_11use_defaultESG_SG_EENS6_6detail15normal_iteratorINS6_10device_ptrIfEEEES8_S8_S8_S8_S8_S8_S8_S8_EEEE15transform_tupleIifEEEPS9_S9_12reduce_tupleIifEEE10hipError_tPvRmT1_T2_T3_mT4_P12ihipStream_tbEUlT_E0_NS1_11comp_targetILNS1_3genE10ELNS1_11target_archE1200ELNS1_3gpuE4ELNS1_3repE0EEENS1_30default_config_static_selectorELNS0_4arch9wavefront6targetE1EEEvSY_
    .private_segment_fixed_size: 0
    .sgpr_count:     4
    .sgpr_spill_count: 0
    .symbol:         _ZN7rocprim17ROCPRIM_400000_NS6detail17trampoline_kernelINS0_14default_configENS1_22reduce_config_selectorIN6thrust23THRUST_200600_302600_NS5tupleIbffNS6_9null_typeES8_S8_S8_S8_S8_S8_EEEEZNS1_11reduce_implILb1ES3_NS6_11hip_rocprim26transform_input_iterator_tIS9_NS6_12zip_iteratorINS7_INS6_17counting_iteratorIiNS6_11use_defaultESG_SG_EENS6_6detail15normal_iteratorINS6_10device_ptrIfEEEES8_S8_S8_S8_S8_S8_S8_S8_EEEE15transform_tupleIifEEEPS9_S9_12reduce_tupleIifEEE10hipError_tPvRmT1_T2_T3_mT4_P12ihipStream_tbEUlT_E0_NS1_11comp_targetILNS1_3genE10ELNS1_11target_archE1200ELNS1_3gpuE4ELNS1_3repE0EEENS1_30default_config_static_selectorELNS0_4arch9wavefront6targetE1EEEvSY_.kd
    .uniform_work_group_size: 1
    .uses_dynamic_stack: false
    .vgpr_count:     0
    .vgpr_spill_count: 0
    .wavefront_size: 64
  - .args:
      - .offset:         0
        .size:           80
        .value_kind:     by_value
    .group_segment_fixed_size: 0
    .kernarg_segment_align: 8
    .kernarg_segment_size: 80
    .language:       OpenCL C
    .language_version:
      - 2
      - 0
    .max_flat_workgroup_size: 256
    .name:           _ZN7rocprim17ROCPRIM_400000_NS6detail17trampoline_kernelINS0_14default_configENS1_22reduce_config_selectorIN6thrust23THRUST_200600_302600_NS5tupleIbffNS6_9null_typeES8_S8_S8_S8_S8_S8_EEEEZNS1_11reduce_implILb1ES3_NS6_11hip_rocprim26transform_input_iterator_tIS9_NS6_12zip_iteratorINS7_INS6_17counting_iteratorIiNS6_11use_defaultESG_SG_EENS6_6detail15normal_iteratorINS6_10device_ptrIfEEEES8_S8_S8_S8_S8_S8_S8_S8_EEEE15transform_tupleIifEEEPS9_S9_12reduce_tupleIifEEE10hipError_tPvRmT1_T2_T3_mT4_P12ihipStream_tbEUlT_E0_NS1_11comp_targetILNS1_3genE9ELNS1_11target_archE1100ELNS1_3gpuE3ELNS1_3repE0EEENS1_30default_config_static_selectorELNS0_4arch9wavefront6targetE1EEEvSY_
    .private_segment_fixed_size: 0
    .sgpr_count:     4
    .sgpr_spill_count: 0
    .symbol:         _ZN7rocprim17ROCPRIM_400000_NS6detail17trampoline_kernelINS0_14default_configENS1_22reduce_config_selectorIN6thrust23THRUST_200600_302600_NS5tupleIbffNS6_9null_typeES8_S8_S8_S8_S8_S8_EEEEZNS1_11reduce_implILb1ES3_NS6_11hip_rocprim26transform_input_iterator_tIS9_NS6_12zip_iteratorINS7_INS6_17counting_iteratorIiNS6_11use_defaultESG_SG_EENS6_6detail15normal_iteratorINS6_10device_ptrIfEEEES8_S8_S8_S8_S8_S8_S8_S8_EEEE15transform_tupleIifEEEPS9_S9_12reduce_tupleIifEEE10hipError_tPvRmT1_T2_T3_mT4_P12ihipStream_tbEUlT_E0_NS1_11comp_targetILNS1_3genE9ELNS1_11target_archE1100ELNS1_3gpuE3ELNS1_3repE0EEENS1_30default_config_static_selectorELNS0_4arch9wavefront6targetE1EEEvSY_.kd
    .uniform_work_group_size: 1
    .uses_dynamic_stack: false
    .vgpr_count:     0
    .vgpr_spill_count: 0
    .wavefront_size: 64
  - .args:
      - .offset:         0
        .size:           80
        .value_kind:     by_value
    .group_segment_fixed_size: 0
    .kernarg_segment_align: 8
    .kernarg_segment_size: 80
    .language:       OpenCL C
    .language_version:
      - 2
      - 0
    .max_flat_workgroup_size: 256
    .name:           _ZN7rocprim17ROCPRIM_400000_NS6detail17trampoline_kernelINS0_14default_configENS1_22reduce_config_selectorIN6thrust23THRUST_200600_302600_NS5tupleIbffNS6_9null_typeES8_S8_S8_S8_S8_S8_EEEEZNS1_11reduce_implILb1ES3_NS6_11hip_rocprim26transform_input_iterator_tIS9_NS6_12zip_iteratorINS7_INS6_17counting_iteratorIiNS6_11use_defaultESG_SG_EENS6_6detail15normal_iteratorINS6_10device_ptrIfEEEES8_S8_S8_S8_S8_S8_S8_S8_EEEE15transform_tupleIifEEEPS9_S9_12reduce_tupleIifEEE10hipError_tPvRmT1_T2_T3_mT4_P12ihipStream_tbEUlT_E0_NS1_11comp_targetILNS1_3genE8ELNS1_11target_archE1030ELNS1_3gpuE2ELNS1_3repE0EEENS1_30default_config_static_selectorELNS0_4arch9wavefront6targetE1EEEvSY_
    .private_segment_fixed_size: 0
    .sgpr_count:     4
    .sgpr_spill_count: 0
    .symbol:         _ZN7rocprim17ROCPRIM_400000_NS6detail17trampoline_kernelINS0_14default_configENS1_22reduce_config_selectorIN6thrust23THRUST_200600_302600_NS5tupleIbffNS6_9null_typeES8_S8_S8_S8_S8_S8_EEEEZNS1_11reduce_implILb1ES3_NS6_11hip_rocprim26transform_input_iterator_tIS9_NS6_12zip_iteratorINS7_INS6_17counting_iteratorIiNS6_11use_defaultESG_SG_EENS6_6detail15normal_iteratorINS6_10device_ptrIfEEEES8_S8_S8_S8_S8_S8_S8_S8_EEEE15transform_tupleIifEEEPS9_S9_12reduce_tupleIifEEE10hipError_tPvRmT1_T2_T3_mT4_P12ihipStream_tbEUlT_E0_NS1_11comp_targetILNS1_3genE8ELNS1_11target_archE1030ELNS1_3gpuE2ELNS1_3repE0EEENS1_30default_config_static_selectorELNS0_4arch9wavefront6targetE1EEEvSY_.kd
    .uniform_work_group_size: 1
    .uses_dynamic_stack: false
    .vgpr_count:     0
    .vgpr_spill_count: 0
    .wavefront_size: 64
  - .args:
      - .offset:         0
        .size:           64
        .value_kind:     by_value
    .group_segment_fixed_size: 0
    .kernarg_segment_align: 8
    .kernarg_segment_size: 64
    .language:       OpenCL C
    .language_version:
      - 2
      - 0
    .max_flat_workgroup_size: 128
    .name:           _ZN7rocprim17ROCPRIM_400000_NS6detail17trampoline_kernelINS0_14default_configENS1_22reduce_config_selectorIN6thrust23THRUST_200600_302600_NS5tupleIbffNS6_9null_typeES8_S8_S8_S8_S8_S8_EEEEZNS1_11reduce_implILb1ES3_NS6_11hip_rocprim26transform_input_iterator_tIS9_NS6_12zip_iteratorINS7_INS6_17counting_iteratorIiNS6_11use_defaultESG_SG_EENS6_6detail15normal_iteratorINS6_10device_ptrIfEEEES8_S8_S8_S8_S8_S8_S8_S8_EEEE15transform_tupleIifEEEPS9_S9_12reduce_tupleIifEEE10hipError_tPvRmT1_T2_T3_mT4_P12ihipStream_tbEUlT_E1_NS1_11comp_targetILNS1_3genE0ELNS1_11target_archE4294967295ELNS1_3gpuE0ELNS1_3repE0EEENS1_30default_config_static_selectorELNS0_4arch9wavefront6targetE1EEEvSY_
    .private_segment_fixed_size: 0
    .sgpr_count:     4
    .sgpr_spill_count: 0
    .symbol:         _ZN7rocprim17ROCPRIM_400000_NS6detail17trampoline_kernelINS0_14default_configENS1_22reduce_config_selectorIN6thrust23THRUST_200600_302600_NS5tupleIbffNS6_9null_typeES8_S8_S8_S8_S8_S8_EEEEZNS1_11reduce_implILb1ES3_NS6_11hip_rocprim26transform_input_iterator_tIS9_NS6_12zip_iteratorINS7_INS6_17counting_iteratorIiNS6_11use_defaultESG_SG_EENS6_6detail15normal_iteratorINS6_10device_ptrIfEEEES8_S8_S8_S8_S8_S8_S8_S8_EEEE15transform_tupleIifEEEPS9_S9_12reduce_tupleIifEEE10hipError_tPvRmT1_T2_T3_mT4_P12ihipStream_tbEUlT_E1_NS1_11comp_targetILNS1_3genE0ELNS1_11target_archE4294967295ELNS1_3gpuE0ELNS1_3repE0EEENS1_30default_config_static_selectorELNS0_4arch9wavefront6targetE1EEEvSY_.kd
    .uniform_work_group_size: 1
    .uses_dynamic_stack: false
    .vgpr_count:     0
    .vgpr_spill_count: 0
    .wavefront_size: 64
  - .args:
      - .offset:         0
        .size:           64
        .value_kind:     by_value
    .group_segment_fixed_size: 0
    .kernarg_segment_align: 8
    .kernarg_segment_size: 64
    .language:       OpenCL C
    .language_version:
      - 2
      - 0
    .max_flat_workgroup_size: 256
    .name:           _ZN7rocprim17ROCPRIM_400000_NS6detail17trampoline_kernelINS0_14default_configENS1_22reduce_config_selectorIN6thrust23THRUST_200600_302600_NS5tupleIbffNS6_9null_typeES8_S8_S8_S8_S8_S8_EEEEZNS1_11reduce_implILb1ES3_NS6_11hip_rocprim26transform_input_iterator_tIS9_NS6_12zip_iteratorINS7_INS6_17counting_iteratorIiNS6_11use_defaultESG_SG_EENS6_6detail15normal_iteratorINS6_10device_ptrIfEEEES8_S8_S8_S8_S8_S8_S8_S8_EEEE15transform_tupleIifEEEPS9_S9_12reduce_tupleIifEEE10hipError_tPvRmT1_T2_T3_mT4_P12ihipStream_tbEUlT_E1_NS1_11comp_targetILNS1_3genE5ELNS1_11target_archE942ELNS1_3gpuE9ELNS1_3repE0EEENS1_30default_config_static_selectorELNS0_4arch9wavefront6targetE1EEEvSY_
    .private_segment_fixed_size: 0
    .sgpr_count:     4
    .sgpr_spill_count: 0
    .symbol:         _ZN7rocprim17ROCPRIM_400000_NS6detail17trampoline_kernelINS0_14default_configENS1_22reduce_config_selectorIN6thrust23THRUST_200600_302600_NS5tupleIbffNS6_9null_typeES8_S8_S8_S8_S8_S8_EEEEZNS1_11reduce_implILb1ES3_NS6_11hip_rocprim26transform_input_iterator_tIS9_NS6_12zip_iteratorINS7_INS6_17counting_iteratorIiNS6_11use_defaultESG_SG_EENS6_6detail15normal_iteratorINS6_10device_ptrIfEEEES8_S8_S8_S8_S8_S8_S8_S8_EEEE15transform_tupleIifEEEPS9_S9_12reduce_tupleIifEEE10hipError_tPvRmT1_T2_T3_mT4_P12ihipStream_tbEUlT_E1_NS1_11comp_targetILNS1_3genE5ELNS1_11target_archE942ELNS1_3gpuE9ELNS1_3repE0EEENS1_30default_config_static_selectorELNS0_4arch9wavefront6targetE1EEEvSY_.kd
    .uniform_work_group_size: 1
    .uses_dynamic_stack: false
    .vgpr_count:     0
    .vgpr_spill_count: 0
    .wavefront_size: 64
  - .args:
      - .offset:         0
        .size:           64
        .value_kind:     by_value
    .group_segment_fixed_size: 0
    .kernarg_segment_align: 8
    .kernarg_segment_size: 64
    .language:       OpenCL C
    .language_version:
      - 2
      - 0
    .max_flat_workgroup_size: 256
    .name:           _ZN7rocprim17ROCPRIM_400000_NS6detail17trampoline_kernelINS0_14default_configENS1_22reduce_config_selectorIN6thrust23THRUST_200600_302600_NS5tupleIbffNS6_9null_typeES8_S8_S8_S8_S8_S8_EEEEZNS1_11reduce_implILb1ES3_NS6_11hip_rocprim26transform_input_iterator_tIS9_NS6_12zip_iteratorINS7_INS6_17counting_iteratorIiNS6_11use_defaultESG_SG_EENS6_6detail15normal_iteratorINS6_10device_ptrIfEEEES8_S8_S8_S8_S8_S8_S8_S8_EEEE15transform_tupleIifEEEPS9_S9_12reduce_tupleIifEEE10hipError_tPvRmT1_T2_T3_mT4_P12ihipStream_tbEUlT_E1_NS1_11comp_targetILNS1_3genE4ELNS1_11target_archE910ELNS1_3gpuE8ELNS1_3repE0EEENS1_30default_config_static_selectorELNS0_4arch9wavefront6targetE1EEEvSY_
    .private_segment_fixed_size: 0
    .sgpr_count:     4
    .sgpr_spill_count: 0
    .symbol:         _ZN7rocprim17ROCPRIM_400000_NS6detail17trampoline_kernelINS0_14default_configENS1_22reduce_config_selectorIN6thrust23THRUST_200600_302600_NS5tupleIbffNS6_9null_typeES8_S8_S8_S8_S8_S8_EEEEZNS1_11reduce_implILb1ES3_NS6_11hip_rocprim26transform_input_iterator_tIS9_NS6_12zip_iteratorINS7_INS6_17counting_iteratorIiNS6_11use_defaultESG_SG_EENS6_6detail15normal_iteratorINS6_10device_ptrIfEEEES8_S8_S8_S8_S8_S8_S8_S8_EEEE15transform_tupleIifEEEPS9_S9_12reduce_tupleIifEEE10hipError_tPvRmT1_T2_T3_mT4_P12ihipStream_tbEUlT_E1_NS1_11comp_targetILNS1_3genE4ELNS1_11target_archE910ELNS1_3gpuE8ELNS1_3repE0EEENS1_30default_config_static_selectorELNS0_4arch9wavefront6targetE1EEEvSY_.kd
    .uniform_work_group_size: 1
    .uses_dynamic_stack: false
    .vgpr_count:     0
    .vgpr_spill_count: 0
    .wavefront_size: 64
  - .args:
      - .offset:         0
        .size:           64
        .value_kind:     by_value
    .group_segment_fixed_size: 0
    .kernarg_segment_align: 8
    .kernarg_segment_size: 64
    .language:       OpenCL C
    .language_version:
      - 2
      - 0
    .max_flat_workgroup_size: 128
    .name:           _ZN7rocprim17ROCPRIM_400000_NS6detail17trampoline_kernelINS0_14default_configENS1_22reduce_config_selectorIN6thrust23THRUST_200600_302600_NS5tupleIbffNS6_9null_typeES8_S8_S8_S8_S8_S8_EEEEZNS1_11reduce_implILb1ES3_NS6_11hip_rocprim26transform_input_iterator_tIS9_NS6_12zip_iteratorINS7_INS6_17counting_iteratorIiNS6_11use_defaultESG_SG_EENS6_6detail15normal_iteratorINS6_10device_ptrIfEEEES8_S8_S8_S8_S8_S8_S8_S8_EEEE15transform_tupleIifEEEPS9_S9_12reduce_tupleIifEEE10hipError_tPvRmT1_T2_T3_mT4_P12ihipStream_tbEUlT_E1_NS1_11comp_targetILNS1_3genE3ELNS1_11target_archE908ELNS1_3gpuE7ELNS1_3repE0EEENS1_30default_config_static_selectorELNS0_4arch9wavefront6targetE1EEEvSY_
    .private_segment_fixed_size: 0
    .sgpr_count:     4
    .sgpr_spill_count: 0
    .symbol:         _ZN7rocprim17ROCPRIM_400000_NS6detail17trampoline_kernelINS0_14default_configENS1_22reduce_config_selectorIN6thrust23THRUST_200600_302600_NS5tupleIbffNS6_9null_typeES8_S8_S8_S8_S8_S8_EEEEZNS1_11reduce_implILb1ES3_NS6_11hip_rocprim26transform_input_iterator_tIS9_NS6_12zip_iteratorINS7_INS6_17counting_iteratorIiNS6_11use_defaultESG_SG_EENS6_6detail15normal_iteratorINS6_10device_ptrIfEEEES8_S8_S8_S8_S8_S8_S8_S8_EEEE15transform_tupleIifEEEPS9_S9_12reduce_tupleIifEEE10hipError_tPvRmT1_T2_T3_mT4_P12ihipStream_tbEUlT_E1_NS1_11comp_targetILNS1_3genE3ELNS1_11target_archE908ELNS1_3gpuE7ELNS1_3repE0EEENS1_30default_config_static_selectorELNS0_4arch9wavefront6targetE1EEEvSY_.kd
    .uniform_work_group_size: 1
    .uses_dynamic_stack: false
    .vgpr_count:     0
    .vgpr_spill_count: 0
    .wavefront_size: 64
  - .args:
      - .offset:         0
        .size:           64
        .value_kind:     by_value
    .group_segment_fixed_size: 184
    .kernarg_segment_align: 8
    .kernarg_segment_size: 64
    .language:       OpenCL C
    .language_version:
      - 2
      - 0
    .max_flat_workgroup_size: 128
    .name:           _ZN7rocprim17ROCPRIM_400000_NS6detail17trampoline_kernelINS0_14default_configENS1_22reduce_config_selectorIN6thrust23THRUST_200600_302600_NS5tupleIbffNS6_9null_typeES8_S8_S8_S8_S8_S8_EEEEZNS1_11reduce_implILb1ES3_NS6_11hip_rocprim26transform_input_iterator_tIS9_NS6_12zip_iteratorINS7_INS6_17counting_iteratorIiNS6_11use_defaultESG_SG_EENS6_6detail15normal_iteratorINS6_10device_ptrIfEEEES8_S8_S8_S8_S8_S8_S8_S8_EEEE15transform_tupleIifEEEPS9_S9_12reduce_tupleIifEEE10hipError_tPvRmT1_T2_T3_mT4_P12ihipStream_tbEUlT_E1_NS1_11comp_targetILNS1_3genE2ELNS1_11target_archE906ELNS1_3gpuE6ELNS1_3repE0EEENS1_30default_config_static_selectorELNS0_4arch9wavefront6targetE1EEEvSY_
    .private_segment_fixed_size: 0
    .sgpr_count:     58
    .sgpr_spill_count: 0
    .symbol:         _ZN7rocprim17ROCPRIM_400000_NS6detail17trampoline_kernelINS0_14default_configENS1_22reduce_config_selectorIN6thrust23THRUST_200600_302600_NS5tupleIbffNS6_9null_typeES8_S8_S8_S8_S8_S8_EEEEZNS1_11reduce_implILb1ES3_NS6_11hip_rocprim26transform_input_iterator_tIS9_NS6_12zip_iteratorINS7_INS6_17counting_iteratorIiNS6_11use_defaultESG_SG_EENS6_6detail15normal_iteratorINS6_10device_ptrIfEEEES8_S8_S8_S8_S8_S8_S8_S8_EEEE15transform_tupleIifEEEPS9_S9_12reduce_tupleIifEEE10hipError_tPvRmT1_T2_T3_mT4_P12ihipStream_tbEUlT_E1_NS1_11comp_targetILNS1_3genE2ELNS1_11target_archE906ELNS1_3gpuE6ELNS1_3repE0EEENS1_30default_config_static_selectorELNS0_4arch9wavefront6targetE1EEEvSY_.kd
    .uniform_work_group_size: 1
    .uses_dynamic_stack: false
    .vgpr_count:     36
    .vgpr_spill_count: 0
    .wavefront_size: 64
  - .args:
      - .offset:         0
        .size:           64
        .value_kind:     by_value
    .group_segment_fixed_size: 0
    .kernarg_segment_align: 8
    .kernarg_segment_size: 64
    .language:       OpenCL C
    .language_version:
      - 2
      - 0
    .max_flat_workgroup_size: 256
    .name:           _ZN7rocprim17ROCPRIM_400000_NS6detail17trampoline_kernelINS0_14default_configENS1_22reduce_config_selectorIN6thrust23THRUST_200600_302600_NS5tupleIbffNS6_9null_typeES8_S8_S8_S8_S8_S8_EEEEZNS1_11reduce_implILb1ES3_NS6_11hip_rocprim26transform_input_iterator_tIS9_NS6_12zip_iteratorINS7_INS6_17counting_iteratorIiNS6_11use_defaultESG_SG_EENS6_6detail15normal_iteratorINS6_10device_ptrIfEEEES8_S8_S8_S8_S8_S8_S8_S8_EEEE15transform_tupleIifEEEPS9_S9_12reduce_tupleIifEEE10hipError_tPvRmT1_T2_T3_mT4_P12ihipStream_tbEUlT_E1_NS1_11comp_targetILNS1_3genE10ELNS1_11target_archE1201ELNS1_3gpuE5ELNS1_3repE0EEENS1_30default_config_static_selectorELNS0_4arch9wavefront6targetE1EEEvSY_
    .private_segment_fixed_size: 0
    .sgpr_count:     4
    .sgpr_spill_count: 0
    .symbol:         _ZN7rocprim17ROCPRIM_400000_NS6detail17trampoline_kernelINS0_14default_configENS1_22reduce_config_selectorIN6thrust23THRUST_200600_302600_NS5tupleIbffNS6_9null_typeES8_S8_S8_S8_S8_S8_EEEEZNS1_11reduce_implILb1ES3_NS6_11hip_rocprim26transform_input_iterator_tIS9_NS6_12zip_iteratorINS7_INS6_17counting_iteratorIiNS6_11use_defaultESG_SG_EENS6_6detail15normal_iteratorINS6_10device_ptrIfEEEES8_S8_S8_S8_S8_S8_S8_S8_EEEE15transform_tupleIifEEEPS9_S9_12reduce_tupleIifEEE10hipError_tPvRmT1_T2_T3_mT4_P12ihipStream_tbEUlT_E1_NS1_11comp_targetILNS1_3genE10ELNS1_11target_archE1201ELNS1_3gpuE5ELNS1_3repE0EEENS1_30default_config_static_selectorELNS0_4arch9wavefront6targetE1EEEvSY_.kd
    .uniform_work_group_size: 1
    .uses_dynamic_stack: false
    .vgpr_count:     0
    .vgpr_spill_count: 0
    .wavefront_size: 64
  - .args:
      - .offset:         0
        .size:           64
        .value_kind:     by_value
    .group_segment_fixed_size: 0
    .kernarg_segment_align: 8
    .kernarg_segment_size: 64
    .language:       OpenCL C
    .language_version:
      - 2
      - 0
    .max_flat_workgroup_size: 256
    .name:           _ZN7rocprim17ROCPRIM_400000_NS6detail17trampoline_kernelINS0_14default_configENS1_22reduce_config_selectorIN6thrust23THRUST_200600_302600_NS5tupleIbffNS6_9null_typeES8_S8_S8_S8_S8_S8_EEEEZNS1_11reduce_implILb1ES3_NS6_11hip_rocprim26transform_input_iterator_tIS9_NS6_12zip_iteratorINS7_INS6_17counting_iteratorIiNS6_11use_defaultESG_SG_EENS6_6detail15normal_iteratorINS6_10device_ptrIfEEEES8_S8_S8_S8_S8_S8_S8_S8_EEEE15transform_tupleIifEEEPS9_S9_12reduce_tupleIifEEE10hipError_tPvRmT1_T2_T3_mT4_P12ihipStream_tbEUlT_E1_NS1_11comp_targetILNS1_3genE10ELNS1_11target_archE1200ELNS1_3gpuE4ELNS1_3repE0EEENS1_30default_config_static_selectorELNS0_4arch9wavefront6targetE1EEEvSY_
    .private_segment_fixed_size: 0
    .sgpr_count:     4
    .sgpr_spill_count: 0
    .symbol:         _ZN7rocprim17ROCPRIM_400000_NS6detail17trampoline_kernelINS0_14default_configENS1_22reduce_config_selectorIN6thrust23THRUST_200600_302600_NS5tupleIbffNS6_9null_typeES8_S8_S8_S8_S8_S8_EEEEZNS1_11reduce_implILb1ES3_NS6_11hip_rocprim26transform_input_iterator_tIS9_NS6_12zip_iteratorINS7_INS6_17counting_iteratorIiNS6_11use_defaultESG_SG_EENS6_6detail15normal_iteratorINS6_10device_ptrIfEEEES8_S8_S8_S8_S8_S8_S8_S8_EEEE15transform_tupleIifEEEPS9_S9_12reduce_tupleIifEEE10hipError_tPvRmT1_T2_T3_mT4_P12ihipStream_tbEUlT_E1_NS1_11comp_targetILNS1_3genE10ELNS1_11target_archE1200ELNS1_3gpuE4ELNS1_3repE0EEENS1_30default_config_static_selectorELNS0_4arch9wavefront6targetE1EEEvSY_.kd
    .uniform_work_group_size: 1
    .uses_dynamic_stack: false
    .vgpr_count:     0
    .vgpr_spill_count: 0
    .wavefront_size: 64
  - .args:
      - .offset:         0
        .size:           64
        .value_kind:     by_value
    .group_segment_fixed_size: 0
    .kernarg_segment_align: 8
    .kernarg_segment_size: 64
    .language:       OpenCL C
    .language_version:
      - 2
      - 0
    .max_flat_workgroup_size: 256
    .name:           _ZN7rocprim17ROCPRIM_400000_NS6detail17trampoline_kernelINS0_14default_configENS1_22reduce_config_selectorIN6thrust23THRUST_200600_302600_NS5tupleIbffNS6_9null_typeES8_S8_S8_S8_S8_S8_EEEEZNS1_11reduce_implILb1ES3_NS6_11hip_rocprim26transform_input_iterator_tIS9_NS6_12zip_iteratorINS7_INS6_17counting_iteratorIiNS6_11use_defaultESG_SG_EENS6_6detail15normal_iteratorINS6_10device_ptrIfEEEES8_S8_S8_S8_S8_S8_S8_S8_EEEE15transform_tupleIifEEEPS9_S9_12reduce_tupleIifEEE10hipError_tPvRmT1_T2_T3_mT4_P12ihipStream_tbEUlT_E1_NS1_11comp_targetILNS1_3genE9ELNS1_11target_archE1100ELNS1_3gpuE3ELNS1_3repE0EEENS1_30default_config_static_selectorELNS0_4arch9wavefront6targetE1EEEvSY_
    .private_segment_fixed_size: 0
    .sgpr_count:     4
    .sgpr_spill_count: 0
    .symbol:         _ZN7rocprim17ROCPRIM_400000_NS6detail17trampoline_kernelINS0_14default_configENS1_22reduce_config_selectorIN6thrust23THRUST_200600_302600_NS5tupleIbffNS6_9null_typeES8_S8_S8_S8_S8_S8_EEEEZNS1_11reduce_implILb1ES3_NS6_11hip_rocprim26transform_input_iterator_tIS9_NS6_12zip_iteratorINS7_INS6_17counting_iteratorIiNS6_11use_defaultESG_SG_EENS6_6detail15normal_iteratorINS6_10device_ptrIfEEEES8_S8_S8_S8_S8_S8_S8_S8_EEEE15transform_tupleIifEEEPS9_S9_12reduce_tupleIifEEE10hipError_tPvRmT1_T2_T3_mT4_P12ihipStream_tbEUlT_E1_NS1_11comp_targetILNS1_3genE9ELNS1_11target_archE1100ELNS1_3gpuE3ELNS1_3repE0EEENS1_30default_config_static_selectorELNS0_4arch9wavefront6targetE1EEEvSY_.kd
    .uniform_work_group_size: 1
    .uses_dynamic_stack: false
    .vgpr_count:     0
    .vgpr_spill_count: 0
    .wavefront_size: 64
  - .args:
      - .offset:         0
        .size:           64
        .value_kind:     by_value
    .group_segment_fixed_size: 0
    .kernarg_segment_align: 8
    .kernarg_segment_size: 64
    .language:       OpenCL C
    .language_version:
      - 2
      - 0
    .max_flat_workgroup_size: 256
    .name:           _ZN7rocprim17ROCPRIM_400000_NS6detail17trampoline_kernelINS0_14default_configENS1_22reduce_config_selectorIN6thrust23THRUST_200600_302600_NS5tupleIbffNS6_9null_typeES8_S8_S8_S8_S8_S8_EEEEZNS1_11reduce_implILb1ES3_NS6_11hip_rocprim26transform_input_iterator_tIS9_NS6_12zip_iteratorINS7_INS6_17counting_iteratorIiNS6_11use_defaultESG_SG_EENS6_6detail15normal_iteratorINS6_10device_ptrIfEEEES8_S8_S8_S8_S8_S8_S8_S8_EEEE15transform_tupleIifEEEPS9_S9_12reduce_tupleIifEEE10hipError_tPvRmT1_T2_T3_mT4_P12ihipStream_tbEUlT_E1_NS1_11comp_targetILNS1_3genE8ELNS1_11target_archE1030ELNS1_3gpuE2ELNS1_3repE0EEENS1_30default_config_static_selectorELNS0_4arch9wavefront6targetE1EEEvSY_
    .private_segment_fixed_size: 0
    .sgpr_count:     4
    .sgpr_spill_count: 0
    .symbol:         _ZN7rocprim17ROCPRIM_400000_NS6detail17trampoline_kernelINS0_14default_configENS1_22reduce_config_selectorIN6thrust23THRUST_200600_302600_NS5tupleIbffNS6_9null_typeES8_S8_S8_S8_S8_S8_EEEEZNS1_11reduce_implILb1ES3_NS6_11hip_rocprim26transform_input_iterator_tIS9_NS6_12zip_iteratorINS7_INS6_17counting_iteratorIiNS6_11use_defaultESG_SG_EENS6_6detail15normal_iteratorINS6_10device_ptrIfEEEES8_S8_S8_S8_S8_S8_S8_S8_EEEE15transform_tupleIifEEEPS9_S9_12reduce_tupleIifEEE10hipError_tPvRmT1_T2_T3_mT4_P12ihipStream_tbEUlT_E1_NS1_11comp_targetILNS1_3genE8ELNS1_11target_archE1030ELNS1_3gpuE2ELNS1_3repE0EEENS1_30default_config_static_selectorELNS0_4arch9wavefront6targetE1EEEvSY_.kd
    .uniform_work_group_size: 1
    .uses_dynamic_stack: false
    .vgpr_count:     0
    .vgpr_spill_count: 0
    .wavefront_size: 64
  - .args:
      - .offset:         0
        .size:           16
        .value_kind:     by_value
      - .offset:         16
        .size:           8
        .value_kind:     by_value
      - .offset:         24
        .size:           8
        .value_kind:     by_value
    .group_segment_fixed_size: 0
    .kernarg_segment_align: 8
    .kernarg_segment_size: 32
    .language:       OpenCL C
    .language_version:
      - 2
      - 0
    .max_flat_workgroup_size: 256
    .name:           _ZN6thrust23THRUST_200600_302600_NS11hip_rocprim14__parallel_for6kernelILj256ENS1_10for_each_fINS0_7pointerINS0_5tupleIbffNS0_9null_typeES7_S7_S7_S7_S7_S7_EENS1_3tagENS0_11use_defaultESA_EENS0_6detail16wrapped_functionINSC_23allocator_traits_detail24construct1_via_allocatorINSC_18no_throw_allocatorINSC_19temporary_allocatorIS8_S9_EEEEEEvEEEEmLj1EEEvT0_T1_SO_
    .private_segment_fixed_size: 0
    .sgpr_count:     16
    .sgpr_spill_count: 0
    .symbol:         _ZN6thrust23THRUST_200600_302600_NS11hip_rocprim14__parallel_for6kernelILj256ENS1_10for_each_fINS0_7pointerINS0_5tupleIbffNS0_9null_typeES7_S7_S7_S7_S7_S7_EENS1_3tagENS0_11use_defaultESA_EENS0_6detail16wrapped_functionINSC_23allocator_traits_detail24construct1_via_allocatorINSC_18no_throw_allocatorINSC_19temporary_allocatorIS8_S9_EEEEEEvEEEEmLj1EEEvT0_T1_SO_.kd
    .uniform_work_group_size: 1
    .uses_dynamic_stack: false
    .vgpr_count:     5
    .vgpr_spill_count: 0
    .wavefront_size: 64
  - .args:
      - .offset:         0
        .size:           16
        .value_kind:     by_value
      - .offset:         16
        .size:           8
        .value_kind:     by_value
      - .offset:         24
        .size:           8
        .value_kind:     by_value
    .group_segment_fixed_size: 0
    .kernarg_segment_align: 8
    .kernarg_segment_size: 32
    .language:       OpenCL C
    .language_version:
      - 2
      - 0
    .max_flat_workgroup_size: 256
    .name:           _ZN6thrust23THRUST_200600_302600_NS11hip_rocprim14__parallel_for6kernelILj256ENS1_10for_each_fINS0_7pointerINS0_5tupleIbffNS0_9null_typeES7_S7_S7_S7_S7_S7_EENS1_3tagENS0_11use_defaultESA_EENS0_6detail16wrapped_functionINSC_23allocator_traits_detail5gozerEvEEEElLj1EEEvT0_T1_SJ_
    .private_segment_fixed_size: 0
    .sgpr_count:     4
    .sgpr_spill_count: 0
    .symbol:         _ZN6thrust23THRUST_200600_302600_NS11hip_rocprim14__parallel_for6kernelILj256ENS1_10for_each_fINS0_7pointerINS0_5tupleIbffNS0_9null_typeES7_S7_S7_S7_S7_S7_EENS1_3tagENS0_11use_defaultESA_EENS0_6detail16wrapped_functionINSC_23allocator_traits_detail5gozerEvEEEElLj1EEEvT0_T1_SJ_.kd
    .uniform_work_group_size: 1
    .uses_dynamic_stack: false
    .vgpr_count:     0
    .vgpr_spill_count: 0
    .wavefront_size: 64
  - .args:
      - .offset:         0
        .size:           16
        .value_kind:     by_value
      - .offset:         16
        .size:           8
        .value_kind:     by_value
      - .offset:         24
        .size:           8
        .value_kind:     by_value
    .group_segment_fixed_size: 0
    .kernarg_segment_align: 8
    .kernarg_segment_size: 32
    .language:       OpenCL C
    .language_version:
      - 2
      - 0
    .max_flat_workgroup_size: 256
    .name:           _ZN6thrust23THRUST_200600_302600_NS11hip_rocprim14__parallel_for6kernelILj256ENS1_20__uninitialized_copy7functorIPNS0_5tupleIbffNS0_9null_typeES7_S7_S7_S7_S7_S7_EENS0_7pointerIS8_NS1_3tagENS0_11use_defaultESC_EEEEmLj1EEEvT0_T1_SG_
    .private_segment_fixed_size: 0
    .sgpr_count:     20
    .sgpr_spill_count: 0
    .symbol:         _ZN6thrust23THRUST_200600_302600_NS11hip_rocprim14__parallel_for6kernelILj256ENS1_20__uninitialized_copy7functorIPNS0_5tupleIbffNS0_9null_typeES7_S7_S7_S7_S7_S7_EENS0_7pointerIS8_NS1_3tagENS0_11use_defaultESC_EEEEmLj1EEEvT0_T1_SG_.kd
    .uniform_work_group_size: 1
    .uses_dynamic_stack: false
    .vgpr_count:     7
    .vgpr_spill_count: 0
    .wavefront_size: 64
amdhsa.target:   amdgcn-amd-amdhsa--gfx906
amdhsa.version:
  - 1
  - 2
...

	.end_amdgpu_metadata
